;; amdgpu-corpus repo=ROCm/rocFFT kind=compiled arch=gfx906 opt=O3
	.text
	.amdgcn_target "amdgcn-amd-amdhsa--gfx906"
	.amdhsa_code_object_version 6
	.protected	bluestein_single_fwd_len726_dim1_dp_op_CI_CI ; -- Begin function bluestein_single_fwd_len726_dim1_dp_op_CI_CI
	.globl	bluestein_single_fwd_len726_dim1_dp_op_CI_CI
	.p2align	8
	.type	bluestein_single_fwd_len726_dim1_dp_op_CI_CI,@function
bluestein_single_fwd_len726_dim1_dp_op_CI_CI: ; @bluestein_single_fwd_len726_dim1_dp_op_CI_CI
; %bb.0:
	s_load_dwordx4 s[16:19], s[4:5], 0x28
	v_mul_u32_u24_e32 v1, 0x3e1, v0
	v_lshrrev_b32_e32 v44, 16, v1
	v_lshl_add_u32 v172, s6, 1, v44
	v_mov_b32_e32 v173, 0
	s_waitcnt lgkmcnt(0)
	v_cmp_gt_u64_e32 vcc, s[16:17], v[172:173]
	s_and_saveexec_b64 s[0:1], vcc
	s_cbranch_execz .LBB0_10
; %bb.1:
	s_load_dwordx4 s[0:3], s[4:5], 0x18
	s_load_dwordx4 s[12:15], s[4:5], 0x0
	v_mul_lo_u16_e32 v1, 0x42, v44
	v_sub_u16_e32 v173, v0, v1
	v_lshlrev_b32_e32 v101, 4, v173
	s_waitcnt lgkmcnt(0)
	s_load_dwordx4 s[8:11], s[0:1], 0x0
	v_and_b32_e32 v44, 1, v44
	s_mov_b32 s24, 0xf8bb580b
	s_mov_b32 s20, 0x43842ef
	s_mov_b32 s22, 0xbb3a28a1
	s_waitcnt lgkmcnt(0)
	v_mad_u64_u32 v[0:1], s[0:1], s10, v172, 0
	v_mad_u64_u32 v[2:3], s[0:1], s8, v173, 0
	s_mul_i32 s6, s9, 0x420
	s_mul_hi_u32 s7, s8, 0x420
	v_mad_u64_u32 v[4:5], s[0:1], s11, v172, v[1:2]
	s_add_i32 s6, s7, s6
	s_mul_i32 s7, s8, 0x420
	v_mad_u64_u32 v[5:6], s[0:1], s9, v173, v[3:4]
	v_mov_b32_e32 v1, v4
	v_lshlrev_b64 v[0:1], 4, v[0:1]
	v_mov_b32_e32 v3, v5
	v_mov_b32_e32 v6, s19
	v_lshlrev_b64 v[2:3], 4, v[2:3]
	v_add_co_u32_e32 v0, vcc, s18, v0
	v_addc_co_u32_e32 v1, vcc, v6, v1, vcc
	v_add_co_u32_e32 v0, vcc, v0, v2
	v_mov_b32_e32 v2, s13
	v_add_co_u32_e64 v136, s[0:1], s12, v101
	v_addc_co_u32_e32 v1, vcc, v1, v3, vcc
	v_addc_co_u32_e64 v16, vcc, 0, v2, s[0:1]
	global_load_dwordx4 v[45:48], v[0:1], off
	v_mov_b32_e32 v2, s6
	v_add_co_u32_e32 v0, vcc, s7, v0
	v_addc_co_u32_e32 v1, vcc, v1, v2, vcc
	global_load_dwordx4 v[40:43], v101, s[12:13]
	global_load_dwordx4 v[20:23], v101, s[12:13] offset:1056
	v_mov_b32_e32 v3, s6
	v_add_co_u32_e32 v2, vcc, s7, v0
	v_addc_co_u32_e32 v3, vcc, v1, v3, vcc
	global_load_dwordx4 v[49:52], v[0:1], off
	global_load_dwordx4 v[53:56], v[2:3], off
	global_load_dwordx4 v[24:27], v101, s[12:13] offset:2112
	global_load_dwordx4 v[8:11], v101, s[12:13] offset:3168
	v_mov_b32_e32 v1, s6
	v_add_co_u32_e32 v0, vcc, s7, v2
	v_addc_co_u32_e32 v1, vcc, v3, v1, vcc
	v_mov_b32_e32 v3, s6
	v_add_co_u32_e32 v2, vcc, s7, v0
	v_addc_co_u32_e32 v3, vcc, v1, v3, vcc
	s_movk_i32 s8, 0x1000
	global_load_dwordx4 v[57:60], v[0:1], off
	global_load_dwordx4 v[61:64], v[2:3], off
	v_add_co_u32_e32 v0, vcc, s8, v136
	v_addc_co_u32_e32 v1, vcc, 0, v16, vcc
	v_mov_b32_e32 v4, s6
	v_add_co_u32_e32 v2, vcc, s7, v2
	v_addc_co_u32_e32 v3, vcc, v3, v4, vcc
	global_load_dwordx4 v[65:68], v[2:3], off
	global_load_dwordx4 v[36:39], v[0:1], off offset:128
	global_load_dwordx4 v[12:15], v[0:1], off offset:1184
	v_add_co_u32_e32 v2, vcc, s7, v2
	v_addc_co_u32_e32 v3, vcc, v3, v4, vcc
	global_load_dwordx4 v[69:72], v[2:3], off
	v_add_co_u32_e32 v2, vcc, s7, v2
	v_addc_co_u32_e32 v3, vcc, v3, v4, vcc
	global_load_dwordx4 v[73:76], v[2:3], off
	global_load_dwordx4 v[28:31], v[0:1], off offset:2240
	global_load_dwordx4 v[4:7], v[0:1], off offset:3296
	v_mov_b32_e32 v1, s6
	v_add_co_u32_e32 v0, vcc, s7, v2
	v_addc_co_u32_e32 v1, vcc, v3, v1, vcc
	s_movk_i32 s8, 0x2000
	v_add_co_u32_e32 v89, vcc, s8, v136
	v_addc_co_u32_e32 v90, vcc, 0, v16, vcc
	v_mov_b32_e32 v2, s6
	v_add_co_u32_e32 v16, vcc, s7, v0
	v_addc_co_u32_e32 v17, vcc, v1, v2, vcc
	global_load_dwordx4 v[77:80], v[0:1], off
	v_mov_b32_e32 v18, s6
	v_add_co_u32_e32 v91, vcc, s7, v16
	global_load_dwordx4 v[81:84], v[16:17], off
	global_load_dwordx4 v[32:35], v[89:90], off offset:256
	global_load_dwordx4 v[0:3], v[89:90], off offset:1312
	v_addc_co_u32_e32 v92, vcc, v17, v18, vcc
	global_load_dwordx4 v[85:88], v[91:92], off
	global_load_dwordx4 v[16:19], v[89:90], off offset:2368
	v_cmp_eq_u32_e32 vcc, 1, v44
	s_load_dwordx4 s[8:11], s[2:3], 0x0
	s_mov_b32 s30, 0xfd768dbf
	s_mov_b32 s25, 0xbfe14ced
	;; [unrolled: 1-line block ×14, first 2 shown]
	s_waitcnt vmcnt(20)
	v_mul_f64 v[89:90], v[47:48], v[42:43]
	v_mul_f64 v[91:92], v[45:46], v[42:43]
	s_mov_b32 s7, 0xbfc2375f
	s_mov_b32 s27, 0xbfe4f49e
	;; [unrolled: 1-line block ×4, first 2 shown]
	s_waitcnt vmcnt(18)
	v_mul_f64 v[93:94], v[51:52], v[22:23]
	v_mul_f64 v[95:96], v[49:50], v[22:23]
	s_waitcnt vmcnt(16)
	v_mul_f64 v[97:98], v[55:56], v[26:27]
	v_mul_f64 v[99:100], v[53:54], v[26:27]
	v_fma_f64 v[45:46], v[45:46], v[40:41], v[89:90]
	v_fma_f64 v[47:48], v[47:48], v[40:41], -v[91:92]
	v_mov_b32_e32 v89, 0x2d60
	v_cndmask_b32_e32 v175, 0, v89, vcc
	v_fma_f64 v[49:50], v[49:50], v[20:21], v[93:94]
	v_fma_f64 v[51:52], v[51:52], v[20:21], -v[95:96]
	v_fma_f64 v[53:54], v[53:54], v[24:25], v[97:98]
	v_fma_f64 v[55:56], v[55:56], v[24:25], -v[99:100]
	v_add_u32_e32 v174, v175, v101
	ds_write_b128 v174, v[45:48]
	ds_write_b128 v174, v[49:52] offset:1056
	ds_write_b128 v174, v[53:56] offset:2112
	s_waitcnt vmcnt(14)
	v_mul_f64 v[46:47], v[57:58], v[10:11]
	v_mul_f64 v[44:45], v[59:60], v[10:11]
	s_mov_b32 s38, s30
	s_mov_b32 s37, 0x3fefac9e
	s_mov_b32 s36, s20
	s_waitcnt vmcnt(11)
	v_mul_f64 v[48:49], v[63:64], v[38:39]
	v_mul_f64 v[50:51], v[61:62], v[38:39]
	s_waitcnt vmcnt(10)
	v_mul_f64 v[52:53], v[67:68], v[14:15]
	v_mul_f64 v[54:55], v[65:66], v[14:15]
	v_fma_f64 v[46:47], v[59:60], v[8:9], -v[46:47]
	v_fma_f64 v[44:45], v[57:58], v[8:9], v[44:45]
	s_mov_b32 s35, 0x3fe14ced
	s_mov_b32 s34, s24
	v_fma_f64 v[48:49], v[61:62], v[36:37], v[48:49]
	v_fma_f64 v[50:51], v[63:64], v[36:37], -v[50:51]
	s_waitcnt vmcnt(7)
	v_mul_f64 v[89:90], v[71:72], v[30:31]
	v_mul_f64 v[91:92], v[69:70], v[30:31]
	s_waitcnt vmcnt(6)
	v_mul_f64 v[60:61], v[75:76], v[6:7]
	v_mul_f64 v[62:63], v[73:74], v[6:7]
	v_fma_f64 v[52:53], v[65:66], v[12:13], v[52:53]
	v_fma_f64 v[54:55], v[67:68], v[12:13], -v[54:55]
	v_cmp_gt_u16_e32 vcc, 55, v173
	v_fma_f64 v[56:57], v[69:70], v[28:29], v[89:90]
	v_fma_f64 v[58:59], v[71:72], v[28:29], -v[91:92]
	v_fma_f64 v[60:61], v[73:74], v[4:5], v[60:61]
	v_fma_f64 v[62:63], v[75:76], v[4:5], -v[62:63]
	s_waitcnt vmcnt(3)
	v_mul_f64 v[64:65], v[79:80], v[34:35]
	v_mul_f64 v[66:67], v[77:78], v[34:35]
	s_waitcnt vmcnt(2)
	v_mul_f64 v[68:69], v[83:84], v[2:3]
	v_mul_f64 v[70:71], v[81:82], v[2:3]
	;; [unrolled: 3-line block ×3, first 2 shown]
	v_fma_f64 v[64:65], v[77:78], v[32:33], v[64:65]
	v_fma_f64 v[66:67], v[79:80], v[32:33], -v[66:67]
	v_fma_f64 v[68:69], v[81:82], v[0:1], v[68:69]
	v_fma_f64 v[70:71], v[83:84], v[0:1], -v[70:71]
	;; [unrolled: 2-line block ×3, first 2 shown]
	ds_write_b128 v174, v[44:47] offset:3168
	ds_write_b128 v174, v[48:51] offset:4224
	;; [unrolled: 1-line block ×8, first 2 shown]
	s_waitcnt lgkmcnt(0)
	s_barrier
	ds_read_b128 v[48:51], v174
	ds_read_b128 v[52:55], v174 offset:1056
	ds_read_b128 v[56:59], v174 offset:2112
	;; [unrolled: 1-line block ×9, first 2 shown]
	s_waitcnt lgkmcnt(8)
	v_add_f64 v[44:45], v[48:49], v[52:53]
	v_add_f64 v[46:47], v[50:51], v[54:55]
	ds_read_b128 v[88:91], v174 offset:10560
	s_waitcnt lgkmcnt(0)
	v_add_f64 v[108:109], v[56:57], v[60:61]
	v_add_f64 v[112:113], v[56:57], -v[60:61]
	v_add_f64 v[110:111], v[58:59], v[62:63]
	v_add_f64 v[92:93], v[54:55], -v[90:91]
	v_add_f64 v[44:45], v[44:45], v[56:57]
	v_add_f64 v[46:47], v[46:47], v[58:59]
	;; [unrolled: 1-line block ×3, first 2 shown]
	v_add_f64 v[56:57], v[68:69], -v[80:81]
	v_add_f64 v[114:115], v[58:59], -v[62:63]
	;; [unrolled: 1-line block ×3, first 2 shown]
	v_mul_f64 v[126:127], v[112:113], s[16:17]
	v_mul_f64 v[96:97], v[92:93], s[24:25]
	v_add_f64 v[44:45], v[44:45], v[64:65]
	v_add_f64 v[46:47], v[46:47], v[66:67]
	v_mul_f64 v[100:101], v[92:93], s[20:21]
	v_mul_f64 v[106:107], v[92:93], s[22:23]
	;; [unrolled: 1-line block ×4, first 2 shown]
	s_barrier
	v_fma_f64 v[98:99], v[94:95], s[2:3], -v[96:97]
	v_add_f64 v[44:45], v[44:45], v[68:69]
	v_add_f64 v[46:47], v[46:47], v[70:71]
	v_fma_f64 v[96:97], v[94:95], s[2:3], v[96:97]
	v_fma_f64 v[134:135], v[108:109], s[28:29], -v[130:131]
	v_add_f64 v[44:45], v[44:45], v[72:73]
	v_add_f64 v[46:47], v[46:47], v[74:75]
	;; [unrolled: 1-line block ×12, first 2 shown]
	v_add_f64 v[66:67], v[66:67], -v[86:87]
	v_add_f64 v[62:63], v[64:65], v[84:85]
	v_add_f64 v[64:65], v[64:65], -v[84:85]
	v_fma_f64 v[84:85], v[94:95], s[26:27], v[106:107]
	v_add_f64 v[44:45], v[44:45], v[88:89]
	v_add_f64 v[88:89], v[52:53], -v[88:89]
	v_add_f64 v[46:47], v[46:47], v[90:91]
	v_add_f64 v[90:91], v[54:55], v[90:91]
	v_mul_f64 v[52:53], v[92:93], s[16:17]
	v_add_f64 v[54:55], v[68:69], v[80:81]
	v_add_f64 v[68:69], v[74:75], -v[78:79]
	v_add_f64 v[74:75], v[74:75], v[78:79]
	v_mul_f64 v[78:79], v[92:93], s[30:31]
	v_mul_f64 v[86:87], v[88:89], s[24:25]
	;; [unrolled: 1-line block ×3, first 2 shown]
	v_fma_f64 v[80:81], v[94:95], s[6:7], v[100:101]
	v_fma_f64 v[102:103], v[94:95], s[18:19], -v[52:53]
	v_fma_f64 v[104:105], v[94:95], s[18:19], v[52:53]
	v_add_f64 v[52:53], v[70:71], v[82:83]
	v_add_f64 v[70:71], v[72:73], -v[76:77]
	v_add_f64 v[72:73], v[72:73], v[76:77]
	v_fma_f64 v[76:77], v[94:95], s[6:7], -v[100:101]
	v_fma_f64 v[82:83], v[94:95], s[26:27], -v[106:107]
	;; [unrolled: 1-line block ×3, first 2 shown]
	v_mul_f64 v[106:107], v[88:89], s[20:21]
	v_fma_f64 v[78:79], v[94:95], s[28:29], v[78:79]
	v_mul_f64 v[94:95], v[88:89], s[22:23]
	v_mul_f64 v[88:89], v[88:89], s[30:31]
	v_fma_f64 v[116:117], v[90:91], s[2:3], v[86:87]
	v_fma_f64 v[118:119], v[90:91], s[18:19], v[92:93]
	v_fma_f64 v[86:87], v[90:91], s[2:3], -v[86:87]
	v_fma_f64 v[92:93], v[90:91], s[18:19], -v[92:93]
	v_fma_f64 v[120:121], v[90:91], s[6:7], v[106:107]
	v_fma_f64 v[106:107], v[90:91], s[6:7], -v[106:107]
	v_fma_f64 v[122:123], v[90:91], s[26:27], v[94:95]
	;; [unrolled: 2-line block ×3, first 2 shown]
	v_fma_f64 v[88:89], v[90:91], s[28:29], -v[88:89]
	v_add_f64 v[90:91], v[48:49], v[98:99]
	v_add_f64 v[98:99], v[50:51], v[116:117]
	;; [unrolled: 1-line block ×3, first 2 shown]
	v_mul_f64 v[118:119], v[114:115], s[16:17]
	v_add_f64 v[86:87], v[50:51], v[86:87]
	v_add_f64 v[102:103], v[48:49], v[102:103]
	;; [unrolled: 1-line block ×7, first 2 shown]
	v_fma_f64 v[128:129], v[108:109], s[18:19], -v[118:119]
	v_add_f64 v[106:107], v[50:51], v[106:107]
	v_add_f64 v[82:83], v[48:49], v[82:83]
	;; [unrolled: 1-line block ×8, first 2 shown]
	v_fma_f64 v[78:79], v[110:111], s[18:19], v[126:127]
	v_add_f64 v[50:51], v[50:51], v[88:89]
	v_add_f64 v[88:89], v[128:129], v[90:91]
	v_mul_f64 v[90:91], v[114:115], s[22:23]
	v_mul_f64 v[128:129], v[112:113], s[22:23]
	s_mov_b32 s17, 0x3fed1bb4
	v_add_f64 v[76:77], v[134:135], v[76:77]
	v_add_f64 v[78:79], v[78:79], v[98:99]
	v_fma_f64 v[98:99], v[108:109], s[18:19], v[118:119]
	v_fma_f64 v[118:119], v[110:111], s[18:19], -v[126:127]
	v_fma_f64 v[126:127], v[108:109], s[26:27], -v[90:91]
	v_fma_f64 v[132:133], v[110:111], s[26:27], v[128:129]
	v_fma_f64 v[90:91], v[108:109], s[26:27], v[90:91]
	v_fma_f64 v[128:129], v[110:111], s[26:27], -v[128:129]
	v_add_f64 v[96:97], v[98:99], v[96:97]
	v_add_f64 v[86:87], v[118:119], v[86:87]
	;; [unrolled: 1-line block ×5, first 2 shown]
	v_fma_f64 v[104:105], v[110:111], s[28:29], v[137:138]
	v_fma_f64 v[116:117], v[108:109], s[28:29], v[130:131]
	v_fma_f64 v[118:119], v[110:111], s[28:29], -v[137:138]
	v_mul_f64 v[126:127], v[114:115], s[36:37]
	v_mul_f64 v[114:115], v[114:115], s[34:35]
	v_add_f64 v[92:93], v[128:129], v[92:93]
	v_mul_f64 v[128:129], v[112:113], s[36:37]
	v_mul_f64 v[112:113], v[112:113], s[34:35]
	v_add_f64 v[104:105], v[104:105], v[120:121]
	v_add_f64 v[80:81], v[116:117], v[80:81]
	;; [unrolled: 1-line block ×3, first 2 shown]
	v_fma_f64 v[116:117], v[108:109], s[6:7], -v[126:127]
	v_fma_f64 v[118:119], v[108:109], s[6:7], v[126:127]
	v_fma_f64 v[120:121], v[108:109], s[2:3], -v[114:115]
	v_fma_f64 v[108:109], v[108:109], s[2:3], v[114:115]
	v_mul_f64 v[114:115], v[66:67], s[20:21]
	v_mul_f64 v[132:133], v[64:65], s[20:21]
	v_fma_f64 v[126:127], v[110:111], s[6:7], v[128:129]
	v_fma_f64 v[128:129], v[110:111], s[6:7], -v[128:129]
	v_fma_f64 v[130:131], v[110:111], s[2:3], v[112:113]
	v_fma_f64 v[110:111], v[110:111], s[2:3], -v[112:113]
	v_add_f64 v[82:83], v[116:117], v[82:83]
	v_add_f64 v[84:85], v[118:119], v[84:85]
	v_fma_f64 v[116:117], v[62:63], s[6:7], -v[114:115]
	v_fma_f64 v[118:119], v[60:61], s[6:7], v[132:133]
	v_add_f64 v[48:49], v[108:109], v[48:49]
	v_mul_f64 v[108:109], v[66:67], s[38:39]
	v_add_f64 v[112:113], v[126:127], v[122:123]
	v_add_f64 v[100:101], v[120:121], v[100:101]
	;; [unrolled: 1-line block ×5, first 2 shown]
	v_mul_f64 v[110:111], v[64:65], s[38:39]
	v_fma_f64 v[114:115], v[62:63], s[6:7], v[114:115]
	v_add_f64 v[78:79], v[118:119], v[78:79]
	v_fma_f64 v[116:117], v[60:61], s[6:7], -v[132:133]
	v_mul_f64 v[118:119], v[66:67], s[16:17]
	v_fma_f64 v[122:123], v[62:63], s[28:29], -v[108:109]
	v_mul_f64 v[124:125], v[64:65], s[16:17]
	v_fma_f64 v[108:109], v[62:63], s[28:29], v[108:109]
	v_fma_f64 v[126:127], v[60:61], s[28:29], v[110:111]
	v_add_f64 v[96:97], v[114:115], v[96:97]
	v_fma_f64 v[110:111], v[60:61], s[28:29], -v[110:111]
	v_add_f64 v[86:87], v[116:117], v[86:87]
	v_fma_f64 v[114:115], v[62:63], s[18:19], -v[118:119]
	v_add_f64 v[98:99], v[122:123], v[98:99]
	v_fma_f64 v[116:117], v[60:61], s[18:19], v[124:125]
	v_mul_f64 v[122:123], v[66:67], s[24:25]
	v_add_f64 v[90:91], v[108:109], v[90:91]
	v_mul_f64 v[108:109], v[64:65], s[24:25]
	v_add_f64 v[92:93], v[110:111], v[92:93]
	v_fma_f64 v[110:111], v[62:63], s[18:19], v[118:119]
	v_add_f64 v[76:77], v[114:115], v[76:77]
	v_fma_f64 v[114:115], v[60:61], s[18:19], -v[124:125]
	v_add_f64 v[104:105], v[116:117], v[104:105]
	v_fma_f64 v[116:117], v[62:63], s[2:3], -v[122:123]
	v_mul_f64 v[66:67], v[66:67], s[22:23]
	v_mul_f64 v[64:65], v[64:65], s[22:23]
	v_add_f64 v[94:95], v[128:129], v[94:95]
	v_fma_f64 v[118:119], v[60:61], s[2:3], v[108:109]
	v_add_f64 v[80:81], v[110:111], v[80:81]
	v_fma_f64 v[108:109], v[60:61], s[2:3], -v[108:109]
	v_add_f64 v[106:107], v[114:115], v[106:107]
	v_add_f64 v[82:83], v[116:117], v[82:83]
	v_fma_f64 v[110:111], v[62:63], s[26:27], -v[66:67]
	v_fma_f64 v[114:115], v[60:61], s[26:27], v[64:65]
	v_mul_f64 v[116:117], v[58:59], s[22:23]
	v_fma_f64 v[122:123], v[62:63], s[2:3], v[122:123]
	v_fma_f64 v[62:63], v[62:63], s[26:27], v[66:67]
	v_add_f64 v[94:95], v[108:109], v[94:95]
	v_mul_f64 v[108:109], v[56:57], s[22:23]
	v_fma_f64 v[60:61], v[60:61], s[26:27], -v[64:65]
	v_add_f64 v[66:67], v[110:111], v[100:101]
	v_add_f64 v[64:65], v[114:115], v[120:121]
	v_fma_f64 v[110:111], v[54:55], s[26:27], -v[116:117]
	v_mul_f64 v[114:115], v[56:57], s[36:37]
	v_add_f64 v[102:103], v[126:127], v[102:103]
	v_mul_f64 v[100:101], v[58:59], s[36:37]
	v_add_f64 v[48:49], v[62:63], v[48:49]
	v_fma_f64 v[62:63], v[54:55], s[26:27], v[116:117]
	v_add_f64 v[60:61], v[60:61], v[50:51]
	v_fma_f64 v[50:51], v[52:53], s[26:27], -v[108:109]
	v_add_f64 v[88:89], v[110:111], v[88:89]
	v_fma_f64 v[110:111], v[52:53], s[6:7], v[114:115]
	v_add_f64 v[112:113], v[118:119], v[112:113]
	v_fma_f64 v[118:119], v[52:53], s[26:27], v[108:109]
	v_fma_f64 v[108:109], v[54:55], s[6:7], -v[100:101]
	v_add_f64 v[62:63], v[62:63], v[96:97]
	v_mul_f64 v[96:97], v[56:57], s[24:25]
	v_add_f64 v[86:87], v[50:51], v[86:87]
	v_fma_f64 v[50:51], v[54:55], s[6:7], v[100:101]
	v_add_f64 v[100:101], v[110:111], v[102:103]
	v_mul_f64 v[110:111], v[58:59], s[30:31]
	v_add_f64 v[78:79], v[118:119], v[78:79]
	v_mul_f64 v[116:117], v[58:59], s[24:25]
	v_fma_f64 v[102:103], v[52:53], s[6:7], -v[114:115]
	v_mul_f64 v[118:119], v[56:57], s[30:31]
	v_fma_f64 v[114:115], v[52:53], s[2:3], v[96:97]
	v_add_f64 v[120:121], v[50:51], v[90:91]
	v_fma_f64 v[50:51], v[52:53], s[2:3], -v[96:97]
	v_fma_f64 v[90:91], v[54:55], s[28:29], -v[110:111]
	v_add_f64 v[98:99], v[108:109], v[98:99]
	v_fma_f64 v[108:109], v[54:55], s[2:3], -v[116:117]
	v_add_f64 v[96:97], v[102:103], v[92:93]
	v_fma_f64 v[92:93], v[52:53], s[28:29], v[118:119]
	v_mul_f64 v[58:59], v[58:59], s[16:17]
	v_add_f64 v[84:85], v[122:123], v[84:85]
	v_add_f64 v[102:103], v[114:115], v[104:105]
	;; [unrolled: 1-line block ×3, first 2 shown]
	v_fma_f64 v[50:51], v[54:55], s[28:29], v[110:111]
	v_add_f64 v[82:83], v[90:91], v[82:83]
	v_mul_f64 v[56:57], v[56:57], s[16:17]
	v_mul_f64 v[90:91], v[68:69], s[30:31]
	v_add_f64 v[76:77], v[108:109], v[76:77]
	v_fma_f64 v[106:107], v[52:53], s[28:29], -v[118:119]
	v_add_f64 v[108:109], v[92:93], v[112:113]
	v_fma_f64 v[92:93], v[54:55], s[18:19], -v[58:59]
	v_mul_f64 v[110:111], v[70:71], s[30:31]
	v_fma_f64 v[116:117], v[54:55], s[2:3], v[116:117]
	v_add_f64 v[84:85], v[50:51], v[84:85]
	v_fma_f64 v[50:51], v[54:55], s[18:19], v[58:59]
	v_fma_f64 v[54:55], v[52:53], s[18:19], v[56:57]
	v_fma_f64 v[52:53], v[52:53], s[18:19], -v[56:57]
	v_fma_f64 v[56:57], v[72:73], s[28:29], -v[90:91]
	v_fma_f64 v[90:91], v[72:73], s[28:29], v[90:91]
	v_add_f64 v[106:107], v[106:107], v[94:95]
	v_add_f64 v[66:67], v[92:93], v[66:67]
	v_fma_f64 v[58:59], v[74:75], s[28:29], v[110:111]
	v_mul_f64 v[92:93], v[68:69], s[34:35]
	v_mul_f64 v[94:95], v[70:71], s[34:35]
	v_fma_f64 v[110:111], v[74:75], s[28:29], -v[110:111]
	v_add_f64 v[114:115], v[50:51], v[48:49]
	v_add_f64 v[48:49], v[56:57], v[88:89]
	;; [unrolled: 1-line block ×3, first 2 shown]
	v_mul_f64 v[62:63], v[70:71], s[22:23]
	v_add_f64 v[112:113], v[54:55], v[64:65]
	v_add_f64 v[50:51], v[58:59], v[78:79]
	v_fma_f64 v[54:55], v[72:73], s[2:3], -v[92:93]
	v_fma_f64 v[56:57], v[74:75], s[2:3], v[94:95]
	v_mul_f64 v[58:59], v[68:69], s[22:23]
	v_fma_f64 v[64:65], v[72:73], s[2:3], v[92:93]
	v_fma_f64 v[78:79], v[74:75], s[2:3], -v[94:95]
	v_add_f64 v[90:91], v[110:111], v[86:87]
	v_add_f64 v[86:87], v[52:53], v[60:61]
	v_fma_f64 v[60:61], v[74:75], s[26:27], v[62:63]
	v_add_f64 v[80:81], v[116:117], v[80:81]
	v_add_f64 v[52:53], v[54:55], v[98:99]
	;; [unrolled: 1-line block ×5, first 2 shown]
	v_fma_f64 v[64:65], v[72:73], s[26:27], v[58:59]
	v_fma_f64 v[62:63], v[74:75], s[26:27], -v[62:63]
	v_mul_f64 v[78:79], v[68:69], s[16:17]
	v_mul_f64 v[100:101], v[70:71], s[16:17]
	v_fma_f64 v[56:57], v[72:73], s[26:27], -v[58:59]
	v_add_f64 v[58:59], v[60:61], v[102:103]
	v_mul_f64 v[60:61], v[68:69], s[20:21]
	v_mul_f64 v[68:69], v[70:71], s[20:21]
	v_add_f64 v[96:97], v[64:65], v[80:81]
	v_add_f64 v[98:99], v[62:63], v[104:105]
	v_fma_f64 v[62:63], v[72:73], s[18:19], -v[78:79]
	v_fma_f64 v[64:65], v[74:75], s[18:19], v[100:101]
	v_fma_f64 v[70:71], v[72:73], s[18:19], v[78:79]
	v_add_f64 v[56:57], v[56:57], v[76:77]
	v_fma_f64 v[78:79], v[72:73], s[6:7], -v[60:61]
	v_fma_f64 v[80:81], v[74:75], s[6:7], v[68:69]
	v_fma_f64 v[72:73], v[72:73], s[6:7], v[60:61]
	v_fma_f64 v[68:69], v[74:75], s[6:7], -v[68:69]
	v_fma_f64 v[76:77], v[74:75], s[18:19], -v[100:101]
	v_add_f64 v[60:61], v[62:63], v[82:83]
	v_add_f64 v[62:63], v[64:65], v[108:109]
	;; [unrolled: 1-line block ×7, first 2 shown]
	v_mul_lo_u16_e32 v68, 11, v173
	v_add_f64 v[102:103], v[76:77], v[106:107]
	v_lshl_add_u32 v148, v68, 4, v175
	ds_write_b128 v148, v[44:47]
	ds_write_b128 v148, v[48:51] offset:16
	ds_write_b128 v148, v[52:55] offset:32
	;; [unrolled: 1-line block ×10, first 2 shown]
	s_waitcnt lgkmcnt(0)
	s_barrier
	ds_read_b128 v[104:107], v174
	ds_read_b128 v[124:127], v174 offset:1936
	ds_read_b128 v[120:123], v174 offset:3872
	;; [unrolled: 1-line block ×5, first 2 shown]
	s_load_dwordx2 s[2:3], s[4:5], 0x38
                                        ; implicit-def: $vgpr128_vgpr129
	s_and_saveexec_b64 s[4:5], vcc
	s_cbranch_execz .LBB0_3
; %bb.2:
	ds_read_b128 v[84:87], v174 offset:1056
	ds_read_b128 v[100:103], v174 offset:2992
	;; [unrolled: 1-line block ×6, first 2 shown]
.LBB0_3:
	s_or_b64 exec, exec, s[4:5]
	s_movk_i32 s6, 0x75
	v_mul_lo_u16_sdwa v44, v173, s6 dst_sel:DWORD dst_unused:UNUSED_PAD src0_sel:BYTE_0 src1_sel:DWORD
	v_sub_u16_sdwa v45, v173, v44 dst_sel:DWORD dst_unused:UNUSED_PAD src0_sel:DWORD src1_sel:BYTE_1
	v_add_u16_e32 v48, 0x42, v173
	v_lshrrev_b16_e32 v45, 1, v45
	v_mul_lo_u16_sdwa v49, v48, s6 dst_sel:DWORD dst_unused:UNUSED_PAD src0_sel:BYTE_0 src1_sel:DWORD
	v_and_b32_e32 v45, 0x7f, v45
	v_sub_u16_sdwa v50, v48, v49 dst_sel:DWORD dst_unused:UNUSED_PAD src0_sel:DWORD src1_sel:BYTE_1
	v_add_u16_sdwa v44, v45, v44 dst_sel:DWORD dst_unused:UNUSED_PAD src0_sel:DWORD src1_sel:BYTE_1
	v_lshrrev_b16_e32 v50, 1, v50
	v_lshrrev_b16_e32 v132, 3, v44
	v_and_b32_e32 v50, 0x7f, v50
	v_mul_lo_u16_e32 v44, 11, v132
	v_add_u16_sdwa v49, v50, v49 dst_sel:DWORD dst_unused:UNUSED_PAD src0_sel:DWORD src1_sel:BYTE_1
	v_sub_u16_e32 v44, v173, v44
	v_lshrrev_b16_e32 v176, 3, v49
	v_and_b32_e32 v133, 0xff, v44
	v_mov_b32_e32 v45, s15
	v_mul_lo_u16_e32 v49, 11, v176
	s_movk_i32 s7, 0x50
	v_mov_b32_e32 v44, s14
	v_sub_u16_e32 v48, v48, v49
	v_mad_u64_u32 v[46:47], s[4:5], v133, s7, v[44:45]
	v_and_b32_e32 v177, 0xff, v48
	v_mad_u64_u32 v[60:61], s[4:5], v177, s7, v[44:45]
	global_load_dwordx4 v[72:75], v[46:47], off offset:48
	global_load_dwordx4 v[68:71], v[46:47], off offset:32
	;; [unrolled: 1-line block ×3, first 2 shown]
	global_load_dwordx4 v[64:67], v[46:47], off
	global_load_dwordx4 v[80:83], v[46:47], off offset:64
	s_nop 0
	global_load_dwordx4 v[44:47], v[60:61], off
	global_load_dwordx4 v[56:59], v[60:61], off offset:16
	global_load_dwordx4 v[52:55], v[60:61], off offset:32
	;; [unrolled: 1-line block ×3, first 2 shown]
	s_nop 0
	global_load_dwordx4 v[60:63], v[60:61], off offset:64
	v_mul_u32_u24_e32 v132, 0x42, v132
	v_add_u32_e32 v132, v132, v133
	v_lshl_add_u32 v178, v132, 4, v175
	s_mov_b32 s4, 0xe8584caa
	s_mov_b32 s5, 0x3febb67a
	;; [unrolled: 1-line block ×4, first 2 shown]
	s_waitcnt vmcnt(0) lgkmcnt(0)
	s_barrier
	v_mul_f64 v[151:152], v[110:111], v[82:83]
	v_mul_f64 v[145:146], v[114:115], v[74:75]
	;; [unrolled: 1-line block ×20, first 2 shown]
	v_fma_f64 v[124:125], v[124:125], v[64:65], -v[132:133]
	v_fma_f64 v[126:127], v[126:127], v[64:65], v[134:135]
	v_fma_f64 v[120:121], v[120:121], v[76:77], -v[137:138]
	v_fma_f64 v[122:123], v[122:123], v[76:77], v[139:140]
	;; [unrolled: 2-line block ×5, first 2 shown]
	v_fma_f64 v[110:111], v[98:99], v[56:57], v[161:162]
	v_fma_f64 v[98:99], v[92:93], v[52:53], -v[163:164]
	v_fma_f64 v[108:109], v[94:95], v[52:53], v[165:166]
	v_fma_f64 v[92:93], v[90:91], v[48:49], v[169:170]
	v_fma_f64 v[90:91], v[128:129], v[60:61], -v[179:180]
	v_fma_f64 v[94:95], v[130:131], v[60:61], v[181:182]
	v_fma_f64 v[100:101], v[100:101], v[44:45], -v[155:156]
	;; [unrolled: 2-line block ×3, first 2 shown]
	v_fma_f64 v[88:89], v[88:89], v[48:49], -v[167:168]
	v_add_f64 v[128:129], v[104:105], v[120:121]
	v_add_f64 v[130:131], v[120:121], v[132:133]
	;; [unrolled: 1-line block ×5, first 2 shown]
	v_add_f64 v[155:156], v[118:119], -v[139:140]
	v_add_f64 v[157:158], v[126:127], v[118:119]
	v_add_f64 v[118:119], v[118:119], v[139:140]
	;; [unrolled: 1-line block ×4, first 2 shown]
	v_add_f64 v[141:142], v[122:123], -v[134:135]
	v_add_f64 v[149:150], v[120:121], -v[132:133]
	v_add_f64 v[151:152], v[124:125], v[116:117]
	v_add_f64 v[116:117], v[116:117], -v[137:138]
	v_add_f64 v[159:160], v[96:97], v[88:89]
	v_add_f64 v[120:121], v[108:109], -v[94:95]
	v_add_f64 v[122:123], v[98:99], -v[90:91]
	v_add_f64 v[128:129], v[128:129], v[132:133]
	v_fma_f64 v[132:133], v[130:131], -0.5, v[104:105]
	v_add_f64 v[143:144], v[143:144], v[134:135]
	v_fma_f64 v[145:146], v[145:146], -0.5, v[106:107]
	v_fma_f64 v[124:125], v[153:154], -0.5, v[124:125]
	;; [unrolled: 1-line block ×5, first 2 shown]
	v_add_f64 v[161:162], v[110:111], v[92:93]
	v_add_f64 v[151:152], v[151:152], v[137:138]
	;; [unrolled: 1-line block ×3, first 2 shown]
	v_fma_f64 v[104:105], v[159:160], -0.5, v[84:85]
	v_fma_f64 v[126:127], v[141:142], s[4:5], v[132:133]
	v_fma_f64 v[159:160], v[141:142], s[6:7], v[132:133]
	;; [unrolled: 1-line block ×10, first 2 shown]
	v_add_f64 v[112:113], v[110:111], -v[92:93]
	v_add_f64 v[114:115], v[96:97], -v[88:89]
	v_fma_f64 v[106:107], v[161:162], -0.5, v[86:87]
	v_add_f64 v[137:138], v[128:129], v[151:152]
	v_add_f64 v[139:140], v[143:144], v[153:154]
	v_mul_f64 v[157:158], v[132:133], s[4:5]
	v_mul_f64 v[161:162], v[149:150], -0.5
	v_mul_f64 v[165:166], v[124:125], s[6:7]
	v_add_f64 v[141:142], v[128:129], -v[151:152]
	v_add_f64 v[143:144], v[143:144], -v[153:154]
	v_mul_f64 v[151:152], v[155:156], -0.5
	v_mul_f64 v[153:154], v[118:119], -0.5
	v_mul_f64 v[167:168], v[116:117], -0.5
	v_fma_f64 v[124:125], v[124:125], 0.5, v[157:158]
	v_fma_f64 v[161:162], v[116:117], s[4:5], v[161:162]
	v_fma_f64 v[165:166], v[132:133], 0.5, v[165:166]
	v_fma_f64 v[116:117], v[112:113], s[6:7], v[104:105]
	v_fma_f64 v[128:129], v[114:115], s[4:5], v[106:107]
	v_fma_f64 v[118:119], v[118:119], s[4:5], v[151:152]
	v_fma_f64 v[132:133], v[155:156], s[6:7], v[153:154]
	v_fma_f64 v[167:168], v[149:150], s[6:7], v[167:168]
	v_add_f64 v[149:150], v[126:127], v[124:125]
	v_add_f64 v[157:158], v[126:127], -v[124:125]
	v_add_f64 v[151:152], v[163:164], v[165:166]
	v_add_f64 v[153:154], v[159:160], v[161:162]
	v_add_f64 v[161:162], v[159:160], -v[161:162]
	v_add_f64 v[124:125], v[116:117], -v[118:119]
	;; [unrolled: 1-line block ×3, first 2 shown]
	v_add_f64 v[155:156], v[145:146], v[167:168]
	v_add_f64 v[159:160], v[163:164], -v[165:166]
	v_add_f64 v[163:164], v[145:146], -v[167:168]
	ds_write_b128 v178, v[137:140]
	ds_write_b128 v178, v[149:152] offset:176
	ds_write_b128 v178, v[153:156] offset:352
	;; [unrolled: 1-line block ×5, first 2 shown]
	s_and_saveexec_b64 s[6:7], vcc
	s_cbranch_execz .LBB0_5
; %bb.4:
	v_mul_f64 v[120:121], v[120:121], s[4:5]
	v_mul_f64 v[122:123], v[122:123], s[4:5]
	v_add_f64 v[86:87], v[86:87], v[110:111]
	v_add_f64 v[102:103], v[102:103], v[108:109]
	;; [unrolled: 1-line block ×4, first 2 shown]
	v_mul_f64 v[98:99], v[112:113], s[4:5]
	v_mul_f64 v[100:101], v[114:115], s[4:5]
	v_add_f64 v[120:121], v[120:121], v[134:135]
	v_add_f64 v[110:111], v[130:131], -v[122:123]
	v_add_f64 v[92:93], v[86:87], v[92:93]
	v_add_f64 v[94:95], v[102:103], v[94:95]
	;; [unrolled: 1-line block ×5, first 2 shown]
	v_add_f64 v[100:101], v[106:107], -v[100:101]
	v_mul_f64 v[108:109], v[120:121], s[4:5]
	v_mul_f64 v[112:113], v[110:111], s[4:5]
	v_add_f64 v[86:87], v[128:129], v[132:133]
	v_add_f64 v[84:85], v[116:117], v[118:119]
	v_add_f64 v[90:91], v[92:93], -v[94:95]
	v_add_f64 v[94:95], v[92:93], v[94:95]
	v_add_f64 v[92:93], v[102:103], v[96:97]
	v_add_f64 v[88:89], v[102:103], -v[96:97]
	v_fma_f64 v[106:107], v[110:111], 0.5, -v[108:109]
	v_fma_f64 v[108:109], v[120:121], 0.5, v[112:113]
	v_add_f64 v[98:99], v[100:101], -v[106:107]
	v_add_f64 v[102:103], v[100:101], v[106:107]
	v_add_f64 v[100:101], v[104:105], v[108:109]
	v_add_f64 v[96:97], v[104:105], -v[108:109]
	v_mul_u32_u24_e32 v104, 0x42, v176
	v_add_u32_e32 v104, v104, v177
	v_lshl_add_u32 v104, v104, 4, v175
	ds_write_b128 v104, v[84:87] offset:352
	ds_write_b128 v104, v[92:95]
	ds_write_b128 v104, v[88:91] offset:528
	ds_write_b128 v104, v[100:103] offset:176
	;; [unrolled: 1-line block ×4, first 2 shown]
.LBB0_5:
	s_or_b64 exec, exec, s[6:7]
	v_mov_b32_e32 v85, s15
	s_movk_i32 s4, 0xa0
	v_mov_b32_e32 v84, s14
	v_mad_u64_u32 v[108:109], s[4:5], v173, s4, v[84:85]
	s_waitcnt lgkmcnt(0)
	s_barrier
	global_load_dwordx4 v[120:123], v[108:109], off offset:880
	global_load_dwordx4 v[112:115], v[108:109], off offset:896
	;; [unrolled: 1-line block ×9, first 2 shown]
	s_nop 0
	global_load_dwordx4 v[108:111], v[108:109], off offset:1024
	ds_read_b128 v[129:132], v174
	ds_read_b128 v[137:140], v174 offset:1056
	ds_read_b128 v[141:144], v174 offset:2112
	;; [unrolled: 1-line block ×10, first 2 shown]
	v_mov_b32_e32 v128, s13
	s_mov_b32 s18, 0xf8bb580b
	s_mov_b32 s4, 0x8eee2c13
	;; [unrolled: 1-line block ×28, first 2 shown]
	v_addc_co_u32_e64 v128, s[0:1], 0, v128, s[0:1]
	s_movk_i32 s0, 0x2000
	s_movk_i32 s33, 0x2d60
	s_waitcnt vmcnt(9) lgkmcnt(9)
	v_mul_f64 v[133:134], v[139:140], v[122:123]
	v_mul_f64 v[145:146], v[137:138], v[122:123]
	s_waitcnt vmcnt(8) lgkmcnt(8)
	v_mul_f64 v[169:170], v[143:144], v[114:115]
	v_mul_f64 v[191:192], v[141:142], v[114:115]
	s_waitcnt vmcnt(7) lgkmcnt(7)
	v_mul_f64 v[193:194], v[151:152], v[98:99]
	s_waitcnt vmcnt(6) lgkmcnt(6)
	;; [unrolled: 2-line block ×6, first 2 shown]
	v_mul_f64 v[213:214], v[181:182], v[86:87]
	v_mul_f64 v[215:216], v[179:180], v[86:87]
	s_waitcnt vmcnt(1) lgkmcnt(1)
	v_mul_f64 v[217:218], v[185:186], v[106:107]
	v_mul_f64 v[219:220], v[183:184], v[106:107]
	s_waitcnt vmcnt(0) lgkmcnt(0)
	v_mul_f64 v[221:222], v[189:190], v[110:111]
	v_fma_f64 v[133:134], v[137:138], v[120:121], -v[133:134]
	v_fma_f64 v[137:138], v[139:140], v[120:121], v[145:146]
	v_mul_f64 v[195:196], v[149:150], v[98:99]
	v_mul_f64 v[199:200], v[153:154], v[90:91]
	;; [unrolled: 1-line block ×6, first 2 shown]
	v_fma_f64 v[139:140], v[141:142], v[112:113], -v[169:170]
	v_fma_f64 v[141:142], v[143:144], v[112:113], v[191:192]
	v_fma_f64 v[143:144], v[149:150], v[96:97], -v[193:194]
	v_fma_f64 v[149:150], v[153:154], v[88:89], -v[197:198]
	;; [unrolled: 1-line block ×7, first 2 shown]
	v_fma_f64 v[179:180], v[181:182], v[84:85], v[215:216]
	v_fma_f64 v[181:182], v[183:184], v[104:105], -v[217:218]
	v_fma_f64 v[183:184], v[185:186], v[104:105], v[219:220]
	v_add_f64 v[185:186], v[129:130], v[133:134]
	v_add_f64 v[187:188], v[131:132], v[137:138]
	v_fma_f64 v[145:146], v[151:152], v[96:97], v[195:196]
	v_fma_f64 v[151:152], v[155:156], v[88:89], v[199:200]
	;; [unrolled: 1-line block ×4, first 2 shown]
	v_add_f64 v[193:194], v[139:140], v[181:182]
	v_add_f64 v[195:196], v[141:142], v[183:184]
	v_add_f64 v[197:198], v[139:140], -v[181:182]
	v_add_f64 v[199:200], v[141:142], -v[183:184]
	v_add_f64 v[139:140], v[185:186], v[139:140]
	v_add_f64 v[141:142], v[187:188], v[141:142]
	v_fma_f64 v[163:164], v[167:168], v[92:93], v[211:212]
	v_fma_f64 v[167:168], v[189:190], v[108:109], v[223:224]
	v_add_f64 v[189:190], v[133:134], v[165:166]
	v_add_f64 v[133:134], v[133:134], -v[165:166]
	v_mul_f64 v[215:216], v[197:198], s[4:5]
	v_mul_f64 v[213:214], v[199:200], s[4:5]
	v_add_f64 v[139:140], v[139:140], v[143:144]
	v_add_f64 v[141:142], v[141:142], v[145:146]
	v_mul_f64 v[217:218], v[199:200], s[20:21]
	v_add_f64 v[191:192], v[137:138], v[167:168]
	v_add_f64 v[137:138], v[137:138], -v[167:168]
	v_mul_f64 v[187:188], v[133:134], s[18:19]
	v_mul_f64 v[203:204], v[133:134], s[4:5]
	;; [unrolled: 1-line block ×3, first 2 shown]
	v_add_f64 v[139:140], v[139:140], v[149:150]
	v_add_f64 v[141:142], v[141:142], v[151:152]
	v_mul_f64 v[211:212], v[133:134], s[20:21]
	v_mul_f64 v[133:134], v[133:134], s[24:25]
	;; [unrolled: 1-line block ×6, first 2 shown]
	v_add_f64 v[139:140], v[139:140], v[153:154]
	v_add_f64 v[141:142], v[141:142], v[155:156]
	v_mul_f64 v[137:138], v[137:138], s[24:25]
	v_mul_f64 v[219:220], v[197:198], s[20:21]
	v_fma_f64 v[221:222], v[189:190], s[16:17], -v[185:186]
	v_fma_f64 v[185:186], v[189:190], s[16:17], v[185:186]
	v_fma_f64 v[225:226], v[189:190], s[6:7], -v[201:202]
	v_fma_f64 v[201:202], v[189:190], s[6:7], v[201:202]
	v_add_f64 v[139:140], v[139:140], v[157:158]
	v_add_f64 v[141:142], v[141:142], v[159:160]
	v_fma_f64 v[229:230], v[189:190], s[14:15], -v[205:206]
	v_fma_f64 v[205:206], v[189:190], s[14:15], v[205:206]
	v_fma_f64 v[233:234], v[189:190], s[22:23], -v[209:210]
	v_fma_f64 v[209:210], v[189:190], s[22:23], v[209:210]
	;; [unrolled: 2-line block ×3, first 2 shown]
	v_add_f64 v[137:138], v[139:140], v[161:162]
	v_add_f64 v[139:140], v[141:142], v[163:164]
	v_fma_f64 v[223:224], v[191:192], s[16:17], v[187:188]
	v_fma_f64 v[187:188], v[191:192], s[16:17], -v[187:188]
	v_fma_f64 v[227:228], v[191:192], s[6:7], v[203:204]
	v_fma_f64 v[203:204], v[191:192], s[6:7], -v[203:204]
	;; [unrolled: 2-line block ×3, first 2 shown]
	v_add_f64 v[137:138], v[137:138], v[169:170]
	v_add_f64 v[139:140], v[139:140], v[179:180]
	v_fma_f64 v[235:236], v[191:192], s[22:23], v[211:212]
	v_fma_f64 v[211:212], v[191:192], s[22:23], -v[211:212]
	v_fma_f64 v[239:240], v[191:192], s[26:27], v[133:134]
	v_fma_f64 v[133:134], v[191:192], s[26:27], -v[133:134]
	v_fma_f64 v[191:192], v[193:194], s[6:7], -v[213:214]
	v_add_f64 v[141:142], v[129:130], v[221:222]
	v_add_f64 v[137:138], v[137:138], v[181:182]
	;; [unrolled: 1-line block ×3, first 2 shown]
	v_fma_f64 v[241:242], v[195:196], s[6:7], v[215:216]
	v_add_f64 v[221:222], v[131:132], v[223:224]
	v_add_f64 v[185:186], v[129:130], v[185:186]
	;; [unrolled: 1-line block ×19, first 2 shown]
	v_fma_f64 v[165:166], v[195:196], s[6:7], -v[215:216]
	v_fma_f64 v[167:168], v[193:194], s[22:23], -v[217:218]
	v_fma_f64 v[215:216], v[195:196], s[22:23], v[219:220]
	v_add_f64 v[129:130], v[129:130], v[189:190]
	v_add_f64 v[131:132], v[131:132], v[133:134]
	;; [unrolled: 1-line block ×3, first 2 shown]
	v_mul_f64 v[189:190], v[199:200], s[34:35]
	v_mul_f64 v[191:192], v[197:198], s[34:35]
	v_fma_f64 v[213:214], v[193:194], s[6:7], v[213:214]
	v_add_f64 v[141:142], v[241:242], v[221:222]
	v_add_f64 v[165:166], v[165:166], v[187:188]
	;; [unrolled: 1-line block ×4, first 2 shown]
	v_mul_f64 v[215:216], v[197:198], s[28:29]
	v_fma_f64 v[219:220], v[195:196], s[22:23], -v[219:220]
	v_fma_f64 v[221:222], v[193:194], s[26:27], -v[189:190]
	v_fma_f64 v[223:224], v[195:196], s[26:27], v[191:192]
	v_fma_f64 v[189:190], v[193:194], s[26:27], v[189:190]
	v_fma_f64 v[191:192], v[195:196], s[26:27], -v[191:192]
	v_mul_f64 v[197:198], v[197:198], s[30:31]
	v_add_f64 v[185:186], v[213:214], v[185:186]
	v_mul_f64 v[213:214], v[199:200], s[28:29]
	v_fma_f64 v[217:218], v[193:194], s[22:23], v[217:218]
	v_fma_f64 v[235:236], v[195:196], s[14:15], v[215:216]
	v_add_f64 v[203:204], v[219:220], v[203:204]
	v_add_f64 v[219:220], v[223:224], v[229:230]
	;; [unrolled: 1-line block ×4, first 2 shown]
	v_add_f64 v[205:206], v[145:146], -v[179:180]
	v_add_f64 v[207:208], v[143:144], -v[169:170]
	v_mul_f64 v[199:200], v[199:200], s[30:31]
	v_fma_f64 v[215:216], v[195:196], s[14:15], -v[215:216]
	v_fma_f64 v[223:224], v[195:196], s[16:17], v[197:198]
	v_fma_f64 v[225:226], v[193:194], s[14:15], -v[213:214]
	v_add_f64 v[201:202], v[217:218], v[201:202]
	v_add_f64 v[217:218], v[221:222], v[227:228]
	v_fma_f64 v[213:214], v[193:194], s[14:15], v[213:214]
	v_add_f64 v[143:144], v[143:144], v[169:170]
	v_add_f64 v[145:146], v[145:146], v[179:180]
	v_mul_f64 v[169:170], v[205:206], s[12:13]
	v_mul_f64 v[179:180], v[207:208], s[12:13]
	v_fma_f64 v[221:222], v[193:194], s[16:17], -v[199:200]
	v_add_f64 v[211:212], v[215:216], v[211:212]
	v_fma_f64 v[195:196], v[195:196], s[16:17], -v[197:198]
	v_add_f64 v[215:216], v[223:224], v[233:234]
	v_mul_f64 v[223:224], v[207:208], s[34:35]
	v_add_f64 v[209:210], v[213:214], v[209:210]
	v_fma_f64 v[193:194], v[193:194], s[16:17], v[199:200]
	v_fma_f64 v[197:198], v[143:144], s[14:15], -v[169:170]
	v_fma_f64 v[199:200], v[145:146], s[14:15], v[179:180]
	v_add_f64 v[213:214], v[221:222], v[231:232]
	v_mul_f64 v[221:222], v[205:206], s[34:35]
	v_add_f64 v[131:132], v[195:196], v[131:132]
	v_fma_f64 v[169:170], v[143:144], s[14:15], v[169:170]
	v_fma_f64 v[179:180], v[145:146], s[14:15], -v[179:180]
	v_fma_f64 v[195:196], v[145:146], s[26:27], v[223:224]
	v_add_f64 v[129:130], v[193:194], v[129:130]
	v_add_f64 v[133:134], v[197:198], v[133:134]
	;; [unrolled: 1-line block ×3, first 2 shown]
	v_fma_f64 v[193:194], v[143:144], s[26:27], -v[221:222]
	v_mul_f64 v[197:198], v[205:206], s[36:37]
	v_mul_f64 v[199:200], v[207:208], s[36:37]
	v_add_f64 v[169:170], v[169:170], v[185:186]
	v_add_f64 v[165:166], v[179:180], v[165:166]
	;; [unrolled: 1-line block ×3, first 2 shown]
	v_fma_f64 v[185:186], v[143:144], s[26:27], v[221:222]
	v_fma_f64 v[187:188], v[145:146], s[26:27], -v[223:224]
	v_mul_f64 v[221:222], v[205:206], s[18:19]
	v_mul_f64 v[223:224], v[207:208], s[18:19]
	v_add_f64 v[181:182], v[225:226], v[181:182]
	v_add_f64 v[183:184], v[235:236], v[183:184]
	;; [unrolled: 1-line block ×3, first 2 shown]
	v_fma_f64 v[193:194], v[143:144], s[6:7], -v[197:198]
	v_fma_f64 v[195:196], v[145:146], s[6:7], v[199:200]
	v_fma_f64 v[197:198], v[143:144], s[6:7], v[197:198]
	v_fma_f64 v[199:200], v[145:146], s[6:7], -v[199:200]
	v_add_f64 v[185:186], v[185:186], v[201:202]
	v_add_f64 v[187:188], v[187:188], v[203:204]
	v_fma_f64 v[201:202], v[143:144], s[16:17], -v[221:222]
	v_fma_f64 v[203:204], v[145:146], s[16:17], v[223:224]
	v_add_f64 v[193:194], v[193:194], v[217:218]
	v_add_f64 v[195:196], v[195:196], v[219:220]
	;; [unrolled: 1-line block ×4, first 2 shown]
	v_mul_f64 v[197:198], v[205:206], s[20:21]
	v_mul_f64 v[199:200], v[207:208], s[20:21]
	v_add_f64 v[181:182], v[201:202], v[181:182]
	v_add_f64 v[183:184], v[203:204], v[183:184]
	v_add_f64 v[201:202], v[151:152], -v[163:164]
	v_add_f64 v[203:204], v[149:150], -v[161:162]
	v_fma_f64 v[205:206], v[143:144], s[16:17], v[221:222]
	v_fma_f64 v[207:208], v[145:146], s[16:17], -v[223:224]
	v_fma_f64 v[217:218], v[143:144], s[22:23], -v[197:198]
	v_fma_f64 v[219:220], v[145:146], s[22:23], v[199:200]
	v_add_f64 v[149:150], v[149:150], v[161:162]
	v_add_f64 v[151:152], v[151:152], v[163:164]
	v_mul_f64 v[161:162], v[201:202], s[20:21]
	v_mul_f64 v[163:164], v[203:204], s[20:21]
	v_add_f64 v[205:206], v[205:206], v[209:210]
	v_add_f64 v[207:208], v[207:208], v[211:212]
	;; [unrolled: 1-line block ×4, first 2 shown]
	v_fma_f64 v[143:144], v[143:144], s[22:23], v[197:198]
	v_fma_f64 v[145:146], v[145:146], s[22:23], -v[199:200]
	v_fma_f64 v[213:214], v[149:150], s[22:23], -v[161:162]
	v_fma_f64 v[215:216], v[151:152], s[22:23], v[163:164]
	v_fma_f64 v[161:162], v[149:150], s[22:23], v[161:162]
	v_fma_f64 v[163:164], v[151:152], s[22:23], -v[163:164]
	v_mul_f64 v[197:198], v[201:202], s[28:29]
	v_mul_f64 v[199:200], v[203:204], s[28:29]
	v_add_f64 v[129:130], v[143:144], v[129:130]
	v_add_f64 v[131:132], v[145:146], v[131:132]
	;; [unrolled: 1-line block ×6, first 2 shown]
	v_mul_f64 v[165:166], v[201:202], s[18:19]
	v_mul_f64 v[169:170], v[203:204], s[18:19]
	v_fma_f64 v[143:144], v[149:150], s[14:15], -v[197:198]
	v_fma_f64 v[145:146], v[151:152], s[14:15], v[199:200]
	v_fma_f64 v[197:198], v[149:150], s[14:15], v[197:198]
	v_fma_f64 v[199:200], v[151:152], s[14:15], -v[199:200]
	v_fma_f64 v[213:214], v[149:150], s[16:17], -v[165:166]
	v_fma_f64 v[215:216], v[151:152], s[16:17], v[169:170]
	v_fma_f64 v[165:166], v[149:150], s[16:17], v[165:166]
	v_fma_f64 v[169:170], v[151:152], s[16:17], -v[169:170]
	v_add_f64 v[167:168], v[143:144], v[167:168]
	v_add_f64 v[145:146], v[145:146], v[179:180]
	v_mul_f64 v[143:144], v[201:202], s[24:25]
	v_mul_f64 v[179:180], v[203:204], s[24:25]
	v_add_f64 v[185:186], v[197:198], v[185:186]
	v_add_f64 v[187:188], v[199:200], v[187:188]
	;; [unrolled: 1-line block ×4, first 2 shown]
	v_add_f64 v[189:190], v[155:156], -v[159:160]
	v_add_f64 v[191:192], v[153:154], -v[157:158]
	v_mul_f64 v[197:198], v[201:202], s[36:37]
	v_mul_f64 v[199:200], v[203:204], s[36:37]
	v_fma_f64 v[217:218], v[149:150], s[26:27], -v[143:144]
	v_fma_f64 v[219:220], v[151:152], s[26:27], v[179:180]
	v_fma_f64 v[143:144], v[149:150], s[26:27], v[143:144]
	v_fma_f64 v[179:180], v[151:152], s[26:27], -v[179:180]
	v_add_f64 v[201:202], v[153:154], v[157:158]
	v_add_f64 v[203:204], v[155:156], v[159:160]
	v_mul_f64 v[153:154], v[189:190], s[24:25]
	v_mul_f64 v[155:156], v[191:192], s[24:25]
	v_fma_f64 v[157:158], v[149:150], s[6:7], -v[197:198]
	v_fma_f64 v[159:160], v[151:152], s[6:7], v[199:200]
	v_add_f64 v[205:206], v[143:144], v[205:206]
	v_add_f64 v[207:208], v[179:180], v[207:208]
	v_fma_f64 v[143:144], v[149:150], s[6:7], v[197:198]
	v_fma_f64 v[149:150], v[151:152], s[6:7], -v[199:200]
	v_fma_f64 v[151:152], v[201:202], s[26:27], -v[153:154]
	v_fma_f64 v[179:180], v[203:204], s[26:27], v[155:156]
	v_add_f64 v[197:198], v[157:158], v[209:210]
	v_add_f64 v[199:200], v[159:160], v[211:212]
	v_mul_f64 v[157:158], v[189:190], s[30:31]
	v_mul_f64 v[159:160], v[191:192], s[30:31]
	v_add_f64 v[209:210], v[143:144], v[129:130]
	v_add_f64 v[211:212], v[149:150], v[131:132]
	;; [unrolled: 1-line block ×4, first 2 shown]
	v_fma_f64 v[133:134], v[201:202], s[26:27], v[153:154]
	v_mul_f64 v[179:180], v[189:190], s[20:21]
	v_fma_f64 v[143:144], v[203:204], s[26:27], -v[155:156]
	v_fma_f64 v[149:150], v[201:202], s[16:17], -v[157:158]
	v_fma_f64 v[151:152], v[203:204], s[16:17], v[159:160]
	v_fma_f64 v[153:154], v[201:202], s[16:17], v[157:158]
	v_mul_f64 v[157:158], v[191:192], s[20:21]
	v_add_f64 v[193:194], v[213:214], v[193:194]
	v_add_f64 v[141:142], v[133:134], v[161:162]
	v_fma_f64 v[133:134], v[201:202], s[22:23], -v[179:180]
	v_add_f64 v[195:196], v[215:216], v[195:196]
	v_add_f64 v[143:144], v[143:144], v[163:164]
	;; [unrolled: 1-line block ×4, first 2 shown]
	v_fma_f64 v[145:146], v[203:204], s[22:23], v[157:158]
	v_fma_f64 v[161:162], v[201:202], s[22:23], v[179:180]
	v_fma_f64 v[163:164], v[203:204], s[22:23], -v[157:158]
	v_mul_f64 v[167:168], v[189:190], s[36:37]
	v_mul_f64 v[179:180], v[191:192], s[36:37]
	v_add_f64 v[153:154], v[153:154], v[185:186]
	v_add_f64 v[157:158], v[133:134], v[193:194]
	v_mul_f64 v[133:134], v[189:190], s[12:13]
	v_mul_f64 v[185:186], v[191:192], s[12:13]
	v_fma_f64 v[155:156], v[203:204], s[16:17], -v[159:160]
	v_add_f64 v[181:182], v[217:218], v[181:182]
	v_add_f64 v[183:184], v[219:220], v[183:184]
	;; [unrolled: 1-line block ×4, first 2 shown]
	v_fma_f64 v[145:146], v[201:202], s[6:7], -v[167:168]
	v_fma_f64 v[169:170], v[203:204], s[6:7], v[179:180]
	v_fma_f64 v[189:190], v[201:202], s[14:15], -v[133:134]
	v_fma_f64 v[191:192], v[203:204], s[14:15], v[185:186]
	v_add_f64 v[155:156], v[155:156], v[187:188]
	v_fma_f64 v[187:188], v[201:202], s[6:7], v[167:168]
	v_fma_f64 v[133:134], v[201:202], s[14:15], v[133:134]
	v_fma_f64 v[193:194], v[203:204], s[14:15], -v[185:186]
	v_fma_f64 v[195:196], v[203:204], s[6:7], -v[179:180]
	v_add_f64 v[161:162], v[161:162], v[165:166]
	v_add_f64 v[165:166], v[145:146], v[181:182]
	;; [unrolled: 1-line block ×9, first 2 shown]
	ds_write_b128 v174, v[137:140]
	ds_write_b128 v174, v[129:132] offset:1056
	ds_write_b128 v174, v[149:152] offset:2112
	;; [unrolled: 1-line block ×10, first 2 shown]
	v_add_co_u32_e64 v129, s[0:1], s0, v136
	v_addc_co_u32_e64 v130, s[0:1], 0, v128, s[0:1]
	s_waitcnt lgkmcnt(0)
	s_barrier
	global_load_dwordx4 v[129:132], v[129:130], off offset:3424
	v_add_co_u32_e64 v133, s[0:1], s33, v136
	v_addc_co_u32_e64 v134, s[0:1], 0, v128, s[0:1]
	global_load_dwordx4 v[137:140], v[133:134], off offset:1056
	global_load_dwordx4 v[141:144], v[133:134], off offset:2112
	;; [unrolled: 1-line block ×3, first 2 shown]
	s_movk_i32 s0, 0x3000
	v_add_co_u32_e64 v133, s[0:1], s0, v136
	v_addc_co_u32_e64 v134, s[0:1], 0, v128, s[0:1]
	global_load_dwordx4 v[153:156], v[133:134], off offset:3552
	s_movk_i32 s0, 0x4000
	v_add_co_u32_e64 v133, s[0:1], s0, v136
	v_addc_co_u32_e64 v134, s[0:1], 0, v128, s[0:1]
	global_load_dwordx4 v[157:160], v[133:134], off offset:512
	global_load_dwordx4 v[161:164], v[133:134], off offset:1568
	;; [unrolled: 1-line block ×4, first 2 shown]
	s_movk_i32 s0, 0x5000
	v_add_co_u32_e64 v145, s[0:1], s0, v136
	v_addc_co_u32_e64 v146, s[0:1], 0, v128, s[0:1]
	global_load_dwordx4 v[133:136], v[145:146], off offset:640
	global_load_dwordx4 v[183:186], v[145:146], off offset:1696
	ds_read_b128 v[187:190], v174
	ds_read_b128 v[191:194], v174 offset:1056
	ds_read_b128 v[195:198], v174 offset:2112
	;; [unrolled: 1-line block ×3, first 2 shown]
	s_mov_b32 s1, 0x3fe82f19
	s_mov_b32 s0, s20
	s_waitcnt vmcnt(10) lgkmcnt(3)
	v_mul_f64 v[145:146], v[189:190], v[131:132]
	v_mul_f64 v[131:132], v[187:188], v[131:132]
	s_waitcnt vmcnt(9) lgkmcnt(2)
	v_mul_f64 v[169:170], v[193:194], v[139:140]
	v_mul_f64 v[139:140], v[191:192], v[139:140]
	;; [unrolled: 3-line block ×3, first 2 shown]
	v_fma_f64 v[143:144], v[187:188], v[129:130], -v[145:146]
	v_fma_f64 v[145:146], v[189:190], v[129:130], v[131:132]
	v_fma_f64 v[128:129], v[191:192], v[137:138], -v[169:170]
	v_fma_f64 v[130:131], v[193:194], v[137:138], v[139:140]
	;; [unrolled: 2-line block ×3, first 2 shown]
	ds_write_b128 v174, v[143:146]
	ds_write_b128 v174, v[128:131] offset:1056
	ds_read_b128 v[128:131], v174 offset:4224
	ds_read_b128 v[141:144], v174 offset:6336
	;; [unrolled: 1-line block ×3, first 2 shown]
	ds_write_b128 v174, v[137:140] offset:2112
	ds_read_b128 v[137:140], v174 offset:5280
	s_waitcnt vmcnt(7) lgkmcnt(7)
	v_mul_f64 v[145:146], v[201:202], v[151:152]
	v_mul_f64 v[151:152], v[199:200], v[151:152]
	s_waitcnt vmcnt(6) lgkmcnt(4)
	v_mul_f64 v[169:170], v[130:131], v[155:156]
	v_mul_f64 v[155:156], v[128:129], v[155:156]
	;; [unrolled: 3-line block ×3, first 2 shown]
	s_waitcnt vmcnt(4)
	v_mul_f64 v[197:198], v[143:144], v[163:164]
	v_mul_f64 v[163:164], v[141:142], v[163:164]
	v_fma_f64 v[191:192], v[199:200], v[149:150], -v[145:146]
	v_fma_f64 v[193:194], v[201:202], v[149:150], v[151:152]
	ds_read_b128 v[149:152], v174 offset:8448
	v_fma_f64 v[128:129], v[128:129], v[153:154], -v[169:170]
	v_fma_f64 v[130:131], v[130:131], v[153:154], v[155:156]
	ds_read_b128 v[153:156], v174 offset:9504
	;; [unrolled: 3-line block ×3, first 2 shown]
	v_fma_f64 v[143:144], v[143:144], v[161:162], v[163:164]
	s_waitcnt vmcnt(3)
	v_mul_f64 v[145:146], v[189:190], v[167:168]
	v_mul_f64 v[163:164], v[187:188], v[167:168]
	s_waitcnt vmcnt(2) lgkmcnt(2)
	v_mul_f64 v[167:168], v[151:152], v[181:182]
	v_mul_f64 v[169:170], v[149:150], v[181:182]
	s_waitcnt vmcnt(1) lgkmcnt(1)
	;; [unrolled: 3-line block ×3, first 2 shown]
	v_mul_f64 v[195:196], v[159:160], v[185:186]
	v_mul_f64 v[185:186], v[157:158], v[185:186]
	v_fma_f64 v[141:142], v[141:142], v[161:162], -v[197:198]
	v_fma_f64 v[161:162], v[187:188], v[165:166], -v[145:146]
	v_fma_f64 v[163:164], v[189:190], v[165:166], v[163:164]
	v_fma_f64 v[149:150], v[149:150], v[179:180], -v[167:168]
	v_fma_f64 v[151:152], v[151:152], v[179:180], v[169:170]
	;; [unrolled: 2-line block ×4, first 2 shown]
	ds_write_b128 v174, v[191:194] offset:3168
	ds_write_b128 v174, v[128:131] offset:4224
	;; [unrolled: 1-line block ×8, first 2 shown]
	s_waitcnt lgkmcnt(0)
	s_barrier
	ds_read_b128 v[128:131], v174
	ds_read_b128 v[132:135], v174 offset:1056
	ds_read_b128 v[136:139], v174 offset:2112
	;; [unrolled: 1-line block ×3, first 2 shown]
	s_waitcnt lgkmcnt(2)
	v_add_f64 v[144:145], v[128:129], v[132:133]
	v_add_f64 v[146:147], v[130:131], v[134:135]
	s_waitcnt lgkmcnt(1)
	v_add_f64 v[144:145], v[144:145], v[136:137]
	v_add_f64 v[146:147], v[146:147], v[138:139]
	;; [unrolled: 3-line block ×3, first 2 shown]
	ds_read_b128 v[144:147], v174 offset:4224
	ds_read_b128 v[149:152], v174 offset:5280
	s_waitcnt lgkmcnt(1)
	v_add_f64 v[153:154], v[153:154], v[144:145]
	v_add_f64 v[155:156], v[155:156], v[146:147]
	s_waitcnt lgkmcnt(0)
	v_add_f64 v[161:162], v[153:154], v[149:150]
	v_add_f64 v[163:164], v[155:156], v[151:152]
	ds_read_b128 v[153:156], v174 offset:6336
	ds_read_b128 v[157:160], v174 offset:7392
	;; [unrolled: 1-line block ×3, first 2 shown]
	s_waitcnt lgkmcnt(2)
	v_add_f64 v[165:166], v[161:162], v[153:154]
	v_add_f64 v[167:168], v[163:164], v[155:156]
	ds_read_b128 v[161:164], v174 offset:10560
	s_waitcnt lgkmcnt(1)
	v_add_f64 v[217:218], v[138:139], -v[181:182]
	v_add_f64 v[138:139], v[138:139], v[181:182]
	v_add_f64 v[221:222], v[136:137], v[179:180]
	v_add_f64 v[136:137], v[136:137], -v[179:180]
	s_waitcnt lgkmcnt(0)
	v_add_f64 v[185:186], v[134:135], -v[163:164]
	v_add_f64 v[134:135], v[134:135], v[163:164]
	v_add_f64 v[169:170], v[165:166], v[157:158]
	;; [unrolled: 1-line block ×4, first 2 shown]
	v_add_f64 v[132:133], v[132:133], -v[161:162]
	ds_read_b128 v[165:168], v174 offset:8448
	v_mul_f64 v[223:224], v[138:139], s[6:7]
	v_mul_f64 v[209:210], v[185:186], s[20:21]
	v_mul_f64 v[211:212], v[134:135], s[22:23]
	v_mul_f64 v[189:190], v[185:186], s[18:19]
	s_waitcnt lgkmcnt(0)
	v_add_f64 v[169:170], v[169:170], v[165:166]
	v_add_f64 v[183:184], v[183:184], v[167:168]
	v_mul_f64 v[191:192], v[134:135], s[16:17]
	v_mul_f64 v[197:198], v[185:186], s[4:5]
	;; [unrolled: 1-line block ×5, first 2 shown]
	v_fma_f64 v[213:214], v[187:188], s[22:23], v[209:210]
	v_fma_f64 v[215:216], v[132:133], s[0:1], v[211:212]
	v_fma_f64 v[209:210], v[187:188], s[22:23], -v[209:210]
	v_fma_f64 v[211:212], v[132:133], s[20:21], v[211:212]
	v_mul_f64 v[185:186], v[185:186], s[24:25]
	v_mul_f64 v[134:135], v[134:135], s[26:27]
	v_add_f64 v[169:170], v[169:170], v[179:180]
	v_add_f64 v[183:184], v[183:184], v[181:182]
	v_fma_f64 v[193:194], v[187:188], s[16:17], v[189:190]
	v_fma_f64 v[195:196], v[132:133], s[30:31], v[191:192]
	v_add_f64 v[181:182], v[128:129], v[209:210]
	v_add_f64 v[209:210], v[130:131], v[211:212]
	v_fma_f64 v[211:212], v[187:188], s[26:27], v[185:186]
	v_fma_f64 v[219:220], v[132:133], s[34:35], v[134:135]
	v_add_f64 v[161:162], v[169:170], v[161:162]
	v_add_f64 v[163:164], v[183:184], v[163:164]
	v_fma_f64 v[169:170], v[187:188], s[16:17], -v[189:190]
	v_add_f64 v[183:184], v[128:129], v[193:194]
	v_add_f64 v[189:190], v[130:131], v[195:196]
	v_fma_f64 v[191:192], v[132:133], s[18:19], v[191:192]
	v_fma_f64 v[193:194], v[187:188], s[6:7], v[197:198]
	;; [unrolled: 1-line block ×3, first 2 shown]
	v_fma_f64 v[197:198], v[187:188], s[6:7], -v[197:198]
	v_fma_f64 v[199:200], v[132:133], s[4:5], v[199:200]
	v_fma_f64 v[205:206], v[187:188], s[14:15], v[201:202]
	;; [unrolled: 1-line block ×3, first 2 shown]
	v_fma_f64 v[201:202], v[187:188], s[14:15], -v[201:202]
	v_fma_f64 v[203:204], v[132:133], s[12:13], v[203:204]
	v_mul_f64 v[179:180], v[217:218], s[4:5]
	v_fma_f64 v[185:186], v[187:188], s[26:27], -v[185:186]
	v_fma_f64 v[132:133], v[132:133], s[24:25], v[134:135]
	v_add_f64 v[134:135], v[128:129], v[211:212]
	v_add_f64 v[187:188], v[130:131], v[219:220]
	v_mul_f64 v[211:212], v[217:218], s[20:21]
	v_mul_f64 v[219:220], v[138:139], s[22:23]
	v_fma_f64 v[227:228], v[136:137], s[36:37], v[223:224]
	v_add_f64 v[169:170], v[128:129], v[169:170]
	v_add_f64 v[191:192], v[130:131], v[191:192]
	;; [unrolled: 1-line block ×12, first 2 shown]
	v_fma_f64 v[225:226], v[221:222], s[6:7], v[179:180]
	v_add_f64 v[128:129], v[128:129], v[185:186]
	v_add_f64 v[130:131], v[130:131], v[132:133]
	v_fma_f64 v[132:133], v[221:222], s[6:7], -v[179:180]
	v_fma_f64 v[179:180], v[136:137], s[4:5], v[223:224]
	v_fma_f64 v[185:186], v[221:222], s[22:23], v[211:212]
	;; [unrolled: 1-line block ×3, first 2 shown]
	v_add_f64 v[189:190], v[227:228], v[189:190]
	v_mul_f64 v[227:228], v[138:139], s[26:27]
	v_add_f64 v[183:184], v[225:226], v[183:184]
	v_mul_f64 v[225:226], v[217:218], s[34:35]
	v_add_f64 v[132:133], v[132:133], v[169:170]
	v_add_f64 v[169:170], v[179:180], v[191:192]
	;; [unrolled: 1-line block ×4, first 2 shown]
	v_fma_f64 v[191:192], v[221:222], s[22:23], -v[211:212]
	v_fma_f64 v[193:194], v[136:137], s[20:21], v[219:220]
	v_fma_f64 v[211:212], v[136:137], s[24:25], v[227:228]
	v_mul_f64 v[219:220], v[217:218], s[28:29]
	v_mul_f64 v[223:224], v[138:139], s[14:15]
	v_fma_f64 v[195:196], v[221:222], s[26:27], v[225:226]
	v_mul_f64 v[217:218], v[217:218], s[30:31]
	v_mul_f64 v[138:139], v[138:139], s[16:17]
	v_add_f64 v[191:192], v[191:192], v[197:198]
	v_add_f64 v[193:194], v[193:194], v[199:200]
	;; [unrolled: 1-line block ×3, first 2 shown]
	v_fma_f64 v[199:200], v[221:222], s[14:15], v[219:220]
	v_fma_f64 v[207:208], v[221:222], s[14:15], -v[219:220]
	v_fma_f64 v[211:212], v[136:137], s[28:29], v[223:224]
	v_add_f64 v[195:196], v[195:196], v[205:206]
	v_fma_f64 v[205:206], v[136:137], s[12:13], v[223:224]
	v_fma_f64 v[227:228], v[136:137], s[34:35], v[227:228]
	v_fma_f64 v[225:226], v[221:222], s[26:27], -v[225:226]
	v_add_f64 v[199:200], v[199:200], v[213:214]
	v_add_f64 v[213:214], v[142:143], -v[167:168]
	v_add_f64 v[142:143], v[142:143], v[167:168]
	v_add_f64 v[167:168], v[207:208], v[181:182]
	;; [unrolled: 1-line block ×3, first 2 shown]
	v_fma_f64 v[207:208], v[221:222], s[16:17], v[217:218]
	v_fma_f64 v[209:210], v[136:137], s[18:19], v[138:139]
	v_add_f64 v[205:206], v[205:206], v[215:216]
	v_add_f64 v[211:212], v[140:141], v[165:166]
	v_add_f64 v[140:141], v[140:141], -v[165:166]
	v_mul_f64 v[165:166], v[213:214], s[12:13]
	v_mul_f64 v[215:216], v[142:143], s[14:15]
	v_fma_f64 v[217:218], v[221:222], s[16:17], -v[217:218]
	v_fma_f64 v[136:137], v[136:137], s[30:31], v[138:139]
	v_add_f64 v[134:135], v[207:208], v[134:135]
	v_add_f64 v[138:139], v[209:210], v[187:188]
	v_mul_f64 v[187:188], v[213:214], s[34:35]
	v_mul_f64 v[207:208], v[142:143], s[26:27]
	v_fma_f64 v[209:210], v[211:212], s[14:15], v[165:166]
	v_fma_f64 v[219:220], v[140:141], s[28:29], v[215:216]
	v_add_f64 v[128:129], v[217:218], v[128:129]
	v_add_f64 v[130:131], v[136:137], v[130:131]
	v_fma_f64 v[136:137], v[211:212], s[14:15], -v[165:166]
	v_fma_f64 v[165:166], v[140:141], s[12:13], v[215:216]
	v_fma_f64 v[215:216], v[211:212], s[26:27], v[187:188]
	;; [unrolled: 1-line block ×3, first 2 shown]
	v_add_f64 v[183:184], v[209:210], v[183:184]
	v_add_f64 v[189:190], v[219:220], v[189:190]
	v_mul_f64 v[209:210], v[213:214], s[36:37]
	v_mul_f64 v[219:220], v[142:143], s[6:7]
	v_add_f64 v[132:133], v[136:137], v[132:133]
	v_add_f64 v[136:137], v[165:166], v[169:170]
	;; [unrolled: 1-line block ×4, first 2 shown]
	v_fma_f64 v[185:186], v[140:141], s[34:35], v[207:208]
	v_mul_f64 v[215:216], v[213:214], s[18:19]
	v_add_f64 v[201:202], v[225:226], v[201:202]
	v_add_f64 v[203:204], v[227:228], v[203:204]
	v_fma_f64 v[179:180], v[211:212], s[26:27], -v[187:188]
	v_fma_f64 v[187:188], v[211:212], s[6:7], v[209:210]
	v_fma_f64 v[207:208], v[140:141], s[4:5], v[219:220]
	v_mul_f64 v[217:218], v[142:143], s[16:17]
	v_fma_f64 v[209:210], v[211:212], s[6:7], -v[209:210]
	v_fma_f64 v[219:220], v[140:141], s[36:37], v[219:220]
	v_add_f64 v[185:186], v[185:186], v[193:194]
	v_fma_f64 v[193:194], v[211:212], s[16:17], v[215:216]
	v_add_f64 v[179:180], v[179:180], v[191:192]
	v_add_f64 v[187:188], v[187:188], v[195:196]
	;; [unrolled: 1-line block ×3, first 2 shown]
	v_fma_f64 v[195:196], v[140:141], s[30:31], v[217:218]
	v_add_f64 v[197:198], v[209:210], v[201:202]
	v_add_f64 v[201:202], v[219:220], v[203:204]
	v_mul_f64 v[203:204], v[213:214], s[20:21]
	v_mul_f64 v[142:143], v[142:143], s[22:23]
	v_fma_f64 v[207:208], v[211:212], s[16:17], -v[215:216]
	v_fma_f64 v[209:210], v[140:141], s[18:19], v[217:218]
	v_add_f64 v[193:194], v[193:194], v[199:200]
	v_add_f64 v[199:200], v[146:147], -v[159:160]
	v_add_f64 v[146:147], v[146:147], v[159:160]
	v_add_f64 v[195:196], v[195:196], v[205:206]
	v_fma_f64 v[159:160], v[211:212], s[22:23], v[203:204]
	v_fma_f64 v[205:206], v[140:141], s[0:1], v[142:143]
	v_add_f64 v[167:168], v[207:208], v[167:168]
	v_add_f64 v[181:182], v[209:210], v[181:182]
	;; [unrolled: 1-line block ×3, first 2 shown]
	v_add_f64 v[144:145], v[144:145], -v[157:158]
	v_mul_f64 v[157:158], v[199:200], s[20:21]
	v_mul_f64 v[209:210], v[146:147], s[22:23]
	v_add_f64 v[134:135], v[159:160], v[134:135]
	v_add_f64 v[138:139], v[205:206], v[138:139]
	v_fma_f64 v[159:160], v[211:212], s[22:23], -v[203:204]
	v_fma_f64 v[140:141], v[140:141], s[20:21], v[142:143]
	v_mul_f64 v[142:143], v[199:200], s[28:29]
	v_mul_f64 v[203:204], v[146:147], s[14:15]
	v_fma_f64 v[205:206], v[207:208], s[22:23], v[157:158]
	v_fma_f64 v[211:212], v[144:145], s[0:1], v[209:210]
	v_fma_f64 v[157:158], v[207:208], s[22:23], -v[157:158]
	v_fma_f64 v[209:210], v[144:145], s[20:21], v[209:210]
	v_add_f64 v[128:129], v[159:160], v[128:129]
	v_add_f64 v[130:131], v[140:141], v[130:131]
	v_fma_f64 v[140:141], v[207:208], s[14:15], v[142:143]
	v_fma_f64 v[159:160], v[144:145], s[12:13], v[203:204]
	v_add_f64 v[183:184], v[205:206], v[183:184]
	v_mul_f64 v[205:206], v[146:147], s[16:17]
	v_add_f64 v[132:133], v[157:158], v[132:133]
	v_add_f64 v[157:158], v[209:210], v[136:137]
	v_mul_f64 v[136:137], v[199:200], s[18:19]
	v_add_f64 v[189:190], v[211:212], v[189:190]
	v_fma_f64 v[142:143], v[207:208], s[14:15], -v[142:143]
	v_fma_f64 v[203:204], v[144:145], s[28:29], v[203:204]
	v_add_f64 v[140:141], v[140:141], v[165:166]
	v_fma_f64 v[211:212], v[144:145], s[30:31], v[205:206]
	v_fma_f64 v[205:206], v[144:145], s[18:19], v[205:206]
	v_add_f64 v[159:160], v[159:160], v[169:170]
	v_fma_f64 v[209:210], v[207:208], s[16:17], v[136:137]
	v_fma_f64 v[136:137], v[207:208], s[16:17], -v[136:137]
	v_mul_f64 v[165:166], v[199:200], s[24:25]
	v_mul_f64 v[169:170], v[146:147], s[26:27]
	v_add_f64 v[142:143], v[142:143], v[179:180]
	v_add_f64 v[179:180], v[203:204], v[185:186]
	;; [unrolled: 1-line block ×3, first 2 shown]
	v_mul_f64 v[146:147], v[146:147], s[6:7]
	v_add_f64 v[185:186], v[209:210], v[187:188]
	v_add_f64 v[187:188], v[211:212], v[191:192]
	;; [unrolled: 1-line block ×4, first 2 shown]
	v_add_f64 v[201:202], v[151:152], -v[155:156]
	v_mul_f64 v[136:137], v[199:200], s[36:37]
	v_fma_f64 v[213:214], v[207:208], s[26:27], v[165:166]
	v_fma_f64 v[215:216], v[144:145], s[34:35], v[169:170]
	v_fma_f64 v[151:152], v[207:208], s[26:27], -v[165:166]
	v_fma_f64 v[155:156], v[144:145], s[24:25], v[169:170]
	v_add_f64 v[165:166], v[149:150], v[153:154]
	v_add_f64 v[169:170], v[149:150], -v[153:154]
	v_mul_f64 v[153:154], v[201:202], s[24:25]
	v_mul_f64 v[199:200], v[203:204], s[26:27]
	v_fma_f64 v[149:150], v[207:208], s[6:7], v[136:137]
	v_fma_f64 v[205:206], v[144:145], s[4:5], v[146:147]
	;; [unrolled: 1-line block ×3, first 2 shown]
	v_add_f64 v[209:210], v[151:152], v[167:168]
	v_fma_f64 v[136:137], v[207:208], s[6:7], -v[136:137]
	v_mul_f64 v[167:168], v[201:202], s[20:21]
	v_fma_f64 v[146:147], v[165:166], s[26:27], v[153:154]
	v_fma_f64 v[151:152], v[169:170], s[34:35], v[199:200]
	v_add_f64 v[207:208], v[149:150], v[134:135]
	v_add_f64 v[205:206], v[205:206], v[138:139]
	v_mul_f64 v[134:135], v[201:202], s[30:31]
	v_mul_f64 v[138:139], v[203:204], s[16:17]
	v_add_f64 v[130:131], v[144:145], v[130:131]
	v_fma_f64 v[144:145], v[169:170], s[24:25], v[199:200]
	v_add_f64 v[149:150], v[146:147], v[183:184]
	v_mul_f64 v[183:184], v[203:204], s[22:23]
	v_add_f64 v[128:129], v[136:137], v[128:129]
	v_add_f64 v[151:152], v[151:152], v[189:190]
	v_fma_f64 v[136:137], v[165:166], s[26:27], -v[153:154]
	v_fma_f64 v[146:147], v[165:166], s[16:17], v[134:135]
	v_fma_f64 v[134:135], v[165:166], s[16:17], -v[134:135]
	v_fma_f64 v[189:190], v[169:170], s[30:31], v[138:139]
	v_add_f64 v[181:182], v[155:156], v[181:182]
	v_fma_f64 v[155:156], v[169:170], s[18:19], v[138:139]
	v_add_f64 v[138:139], v[144:145], v[157:158]
	;; [unrolled: 2-line block ×3, first 2 shown]
	v_add_f64 v[153:154], v[146:147], v[140:141]
	v_fma_f64 v[140:141], v[165:166], s[22:23], v[167:168]
	v_add_f64 v[132:133], v[134:135], v[142:143]
	v_add_f64 v[134:135], v[189:190], v[179:180]
	v_fma_f64 v[142:143], v[165:166], s[22:23], -v[167:168]
	v_fma_f64 v[146:147], v[169:170], s[20:21], v[183:184]
	v_mul_f64 v[167:168], v[201:202], s[36:37]
	v_mul_f64 v[179:180], v[203:204], s[6:7]
	v_add_f64 v[155:156], v[155:156], v[159:160]
	v_add_f64 v[159:160], v[144:145], v[187:188]
	v_mul_f64 v[144:145], v[201:202], s[12:13]
	v_mul_f64 v[183:184], v[203:204], s[14:15]
	v_add_f64 v[193:194], v[213:214], v[193:194]
	v_add_f64 v[195:196], v[215:216], v[195:196]
	;; [unrolled: 1-line block ×5, first 2 shown]
	v_fma_f64 v[146:147], v[165:166], s[6:7], v[167:168]
	v_fma_f64 v[185:186], v[169:170], s[4:5], v[179:180]
	;; [unrolled: 1-line block ×5, first 2 shown]
	v_fma_f64 v[197:198], v[165:166], s[14:15], -v[144:145]
	v_fma_f64 v[169:170], v[169:170], s[12:13], v[183:184]
	v_fma_f64 v[187:188], v[165:166], s[6:7], -v[167:168]
	v_add_f64 v[165:166], v[146:147], v[193:194]
	v_add_f64 v[167:168], v[185:186], v[195:196]
	;; [unrolled: 1-line block ×8, first 2 shown]
	s_barrier
	ds_write_b128 v148, v[161:164]
	ds_write_b128 v148, v[149:152] offset:16
	ds_write_b128 v148, v[153:156] offset:32
	;; [unrolled: 1-line block ×10, first 2 shown]
	s_waitcnt lgkmcnt(0)
	s_barrier
	ds_read_b128 v[148:151], v174
	ds_read_b128 v[152:155], v174 offset:1936
	ds_read_b128 v[164:167], v174 offset:3872
	;; [unrolled: 1-line block ×5, first 2 shown]
	s_and_saveexec_b64 s[0:1], vcc
	s_cbranch_execz .LBB0_7
; %bb.6:
	ds_read_b128 v[128:131], v174 offset:1056
	ds_read_b128 v[144:147], v174 offset:2992
	;; [unrolled: 1-line block ×6, first 2 shown]
.LBB0_7:
	s_or_b64 exec, exec, s[0:1]
	s_waitcnt lgkmcnt(3)
	v_mul_f64 v[179:180], v[78:79], v[166:167]
	s_waitcnt lgkmcnt(1)
	v_mul_f64 v[181:182], v[74:75], v[170:171]
	v_mul_f64 v[78:79], v[78:79], v[164:165]
	;; [unrolled: 1-line block ×4, first 2 shown]
	s_waitcnt lgkmcnt(0)
	v_mul_f64 v[185:186], v[82:83], v[160:161]
	v_mul_f64 v[70:71], v[70:71], v[158:159]
	;; [unrolled: 1-line block ×3, first 2 shown]
	v_fma_f64 v[164:165], v[76:77], v[164:165], v[179:180]
	v_fma_f64 v[168:169], v[72:73], v[168:169], v[181:182]
	v_mul_f64 v[179:180], v[66:67], v[152:153]
	v_fma_f64 v[76:77], v[76:77], v[166:167], -v[78:79]
	v_fma_f64 v[78:79], v[68:69], v[158:159], -v[183:184]
	v_fma_f64 v[72:73], v[72:73], v[170:171], -v[74:75]
	v_fma_f64 v[74:75], v[80:81], v[162:163], -v[185:186]
	v_mul_f64 v[66:67], v[66:67], v[154:155]
	v_fma_f64 v[68:69], v[68:69], v[156:157], v[70:71]
	v_add_f64 v[158:159], v[164:165], v[168:169]
	v_fma_f64 v[154:155], v[64:65], v[154:155], -v[179:180]
	v_fma_f64 v[70:71], v[80:81], v[160:161], v[82:83]
	v_add_f64 v[80:81], v[148:149], v[164:165]
	v_add_f64 v[82:83], v[76:77], -v[72:73]
	v_add_f64 v[156:157], v[78:79], v[74:75]
	v_fma_f64 v[64:65], v[64:65], v[152:153], v[66:67]
	s_mov_b32 s0, 0xe8584caa
	v_fma_f64 v[148:149], v[158:159], -0.5, v[148:149]
	s_mov_b32 s1, 0xbfebb67a
	v_add_f64 v[66:67], v[68:69], v[70:71]
	v_add_f64 v[152:153], v[68:69], -v[70:71]
	s_mov_b32 s5, 0x3febb67a
	v_fma_f64 v[156:157], v[156:157], -0.5, v[154:155]
	v_add_f64 v[160:161], v[150:151], v[76:77]
	v_add_f64 v[76:77], v[76:77], v[72:73]
	s_mov_b32 s4, s0
	v_fma_f64 v[158:159], v[82:83], s[0:1], v[148:149]
	v_fma_f64 v[66:67], v[66:67], -0.5, v[64:65]
	v_add_f64 v[162:163], v[78:79], -v[74:75]
	v_fma_f64 v[82:83], v[82:83], s[4:5], v[148:149]
	v_fma_f64 v[148:149], v[152:153], s[4:5], v[156:157]
	;; [unrolled: 1-line block ×3, first 2 shown]
	v_add_f64 v[156:157], v[160:161], v[72:73]
	v_fma_f64 v[72:73], v[76:77], -0.5, v[150:151]
	v_add_f64 v[76:77], v[164:165], -v[168:169]
	v_add_f64 v[64:65], v[64:65], v[68:69]
	v_add_f64 v[78:79], v[154:155], v[78:79]
	v_fma_f64 v[68:69], v[162:163], s[0:1], v[66:67]
	v_mul_f64 v[150:151], v[148:149], s[0:1]
	v_mul_f64 v[148:149], v[148:149], 0.5
	v_fma_f64 v[66:67], v[162:163], s[4:5], v[66:67]
	v_mul_f64 v[160:161], v[152:153], s[0:1]
	v_mul_f64 v[152:153], v[152:153], -0.5
	v_add_f64 v[80:81], v[80:81], v[168:169]
	v_fma_f64 v[154:155], v[76:77], s[4:5], v[72:73]
	v_fma_f64 v[162:163], v[76:77], s[0:1], v[72:73]
	v_add_f64 v[76:77], v[64:65], v[70:71]
	v_add_f64 v[78:79], v[78:79], v[74:75]
	v_fma_f64 v[150:151], v[68:69], 0.5, v[150:151]
	v_fma_f64 v[164:165], v[68:69], s[4:5], v[148:149]
	v_fma_f64 v[160:161], v[66:67], -0.5, v[160:161]
	v_fma_f64 v[152:153], v[66:67], s[4:5], v[152:153]
	s_barrier
	v_add_f64 v[64:65], v[80:81], v[76:77]
	v_add_f64 v[66:67], v[156:157], v[78:79]
	;; [unrolled: 1-line block ×6, first 2 shown]
	v_add_f64 v[76:77], v[80:81], -v[76:77]
	v_add_f64 v[78:79], v[156:157], -v[78:79]
	;; [unrolled: 1-line block ×6, first 2 shown]
	ds_write_b128 v178, v[64:67]
	ds_write_b128 v178, v[68:71] offset:176
	ds_write_b128 v178, v[72:75] offset:352
	;; [unrolled: 1-line block ×5, first 2 shown]
	s_and_saveexec_b64 s[6:7], vcc
	s_cbranch_execz .LBB0_9
; %bb.8:
	v_mul_f64 v[66:67], v[54:55], v[132:133]
	v_mul_f64 v[68:69], v[62:63], v[124:125]
	;; [unrolled: 1-line block ×8, first 2 shown]
	v_fma_f64 v[66:67], v[52:53], v[134:135], -v[66:67]
	v_fma_f64 v[68:69], v[60:61], v[126:127], -v[68:69]
	;; [unrolled: 1-line block ×3, first 2 shown]
	v_mul_f64 v[50:51], v[50:51], v[138:139]
	v_fma_f64 v[70:71], v[48:49], v[138:139], -v[70:71]
	v_fma_f64 v[56:57], v[56:57], v[140:141], v[58:59]
	v_mul_f64 v[46:47], v[46:47], v[146:147]
	v_fma_f64 v[52:53], v[52:53], v[132:133], v[54:55]
	v_fma_f64 v[54:55], v[60:61], v[124:125], v[62:63]
	v_fma_f64 v[58:59], v[44:45], v[146:147], -v[72:73]
	v_add_f64 v[60:61], v[66:67], v[68:69]
	v_fma_f64 v[48:49], v[48:49], v[136:137], v[50:51]
	v_add_f64 v[74:75], v[66:67], -v[68:69]
	v_add_f64 v[76:77], v[130:131], v[64:65]
	v_fma_f64 v[44:45], v[44:45], v[144:145], v[46:47]
	v_add_f64 v[46:47], v[64:65], v[70:71]
	v_add_f64 v[50:51], v[52:53], v[54:55]
	v_add_f64 v[62:63], v[52:53], -v[54:55]
	v_fma_f64 v[60:61], v[60:61], -0.5, v[58:59]
	v_add_f64 v[72:73], v[56:57], -v[48:49]
	v_add_f64 v[58:59], v[58:59], v[66:67]
	v_add_f64 v[66:67], v[56:57], v[48:49]
	;; [unrolled: 1-line block ×3, first 2 shown]
	v_fma_f64 v[46:47], v[46:47], -0.5, v[130:131]
	v_fma_f64 v[50:51], v[50:51], -0.5, v[44:45]
	v_add_f64 v[44:45], v[44:45], v[52:53]
	v_fma_f64 v[78:79], v[62:63], s[0:1], v[60:61]
	v_fma_f64 v[60:61], v[62:63], s[4:5], v[60:61]
	v_add_f64 v[64:65], v[64:65], -v[70:71]
	v_add_f64 v[52:53], v[76:77], v[70:71]
	v_fma_f64 v[66:67], v[66:67], -0.5, v[128:129]
	v_add_f64 v[68:69], v[58:59], v[68:69]
	v_fma_f64 v[62:63], v[74:75], s[4:5], v[50:51]
	v_fma_f64 v[50:51], v[74:75], s[0:1], v[50:51]
	v_mul_f64 v[70:71], v[78:79], -0.5
	v_mul_f64 v[74:75], v[60:61], 0.5
	v_fma_f64 v[58:59], v[72:73], s[0:1], v[46:47]
	v_fma_f64 v[72:73], v[72:73], s[4:5], v[46:47]
	v_mul_f64 v[46:47], v[60:61], s[0:1]
	v_mul_f64 v[76:77], v[78:79], s[0:1]
	v_add_f64 v[48:49], v[56:57], v[48:49]
	v_add_f64 v[78:79], v[44:45], v[54:55]
	v_fma_f64 v[60:61], v[62:63], s[4:5], v[70:71]
	v_fma_f64 v[70:71], v[50:51], s[4:5], v[74:75]
	;; [unrolled: 1-line block ×4, first 2 shown]
	v_fma_f64 v[82:83], v[50:51], 0.5, v[46:47]
	v_fma_f64 v[76:77], v[62:63], -0.5, v[76:77]
	v_add_f64 v[66:67], v[52:53], v[68:69]
	v_add_f64 v[64:65], v[48:49], v[78:79]
	v_add_f64 v[46:47], v[58:59], -v[60:61]
	v_add_f64 v[58:59], v[58:59], v[60:61]
	v_add_f64 v[62:63], v[72:73], v[70:71]
	v_add_f64 v[54:55], v[52:53], -v[68:69]
	;; [unrolled: 3-line block ×3, first 2 shown]
	v_add_f64 v[50:51], v[72:73], -v[70:71]
	v_add_f64 v[48:49], v[80:81], -v[82:83]
	;; [unrolled: 1-line block ×3, first 2 shown]
	v_mul_u32_u24_e32 v68, 0x42, v176
	v_add_u32_e32 v68, v68, v177
	v_lshl_add_u32 v68, v68, 4, v175
	ds_write_b128 v68, v[64:67]
	ds_write_b128 v68, v[60:63] offset:176
	ds_write_b128 v68, v[56:59] offset:352
	;; [unrolled: 1-line block ×5, first 2 shown]
.LBB0_9:
	s_or_b64 exec, exec, s[6:7]
	s_waitcnt lgkmcnt(0)
	s_barrier
	ds_read_b128 v[44:47], v174 offset:1056
	ds_read_b128 v[52:55], v174 offset:3168
	;; [unrolled: 1-line block ×3, first 2 shown]
	s_mov_b32 s12, 0xf8bb580b
	s_mov_b32 s13, 0xbfe14ced
	s_waitcnt lgkmcnt(2)
	v_mul_f64 v[56:57], v[122:123], v[46:47]
	v_mul_f64 v[58:59], v[122:123], v[44:45]
	s_waitcnt lgkmcnt(1)
	v_mul_f64 v[64:65], v[98:99], v[54:55]
	v_mul_f64 v[66:67], v[98:99], v[52:53]
	s_mov_b32 s6, 0x8764f0ba
	s_mov_b32 s0, 0x8eee2c13
	;; [unrolled: 1-line block ×4, first 2 shown]
	v_fma_f64 v[72:73], v[120:121], v[44:45], v[56:57]
	v_fma_f64 v[74:75], v[120:121], v[46:47], -v[58:59]
	ds_read_b128 v[56:59], v174
	s_waitcnt lgkmcnt(1)
	v_mul_f64 v[60:61], v[114:115], v[50:51]
	v_mul_f64 v[62:63], v[114:115], v[48:49]
	ds_read_b128 v[44:47], v174 offset:4224
	v_fma_f64 v[80:81], v[96:97], v[52:53], v[64:65]
	v_fma_f64 v[82:83], v[96:97], v[54:55], -v[66:67]
	s_mov_b32 s20, 0x640f44db
	s_mov_b32 s24, 0xbb3a28a1
	;; [unrolled: 1-line block ×3, first 2 shown]
	v_fma_f64 v[76:77], v[112:113], v[48:49], v[60:61]
	v_fma_f64 v[78:79], v[112:113], v[50:51], -v[62:63]
	ds_read_b128 v[48:51], v174 offset:5280
	s_waitcnt lgkmcnt(2)
	v_add_f64 v[60:61], v[56:57], v[72:73]
	v_add_f64 v[62:63], v[58:59], v[74:75]
	s_waitcnt lgkmcnt(1)
	v_mul_f64 v[68:69], v[90:91], v[46:47]
	v_mul_f64 v[70:71], v[90:91], v[44:45]
	s_waitcnt lgkmcnt(0)
	v_mul_f64 v[90:91], v[118:119], v[50:51]
	v_mul_f64 v[96:97], v[118:119], v[48:49]
	s_mov_b32 s30, 0xfd768dbf
	s_mov_b32 s34, 0x9bcd5057
	v_add_f64 v[64:65], v[60:61], v[76:77]
	v_add_f64 v[66:67], v[62:63], v[78:79]
	v_fma_f64 v[98:99], v[88:89], v[44:45], v[68:69]
	v_fma_f64 v[88:89], v[88:89], v[46:47], -v[70:71]
	ds_read_b128 v[52:55], v174 offset:6336
	ds_read_b128 v[60:63], v174 offset:7392
	v_fma_f64 v[48:49], v[116:117], v[48:49], v[90:91]
	v_fma_f64 v[50:51], v[116:117], v[50:51], -v[96:97]
	s_mov_b32 s7, 0x3feaeb8c
	v_add_f64 v[112:113], v[64:65], v[80:81]
	v_add_f64 v[114:115], v[66:67], v[82:83]
	s_waitcnt lgkmcnt(1)
	v_mul_f64 v[118:119], v[102:103], v[54:55]
	v_mul_f64 v[102:103], v[102:103], v[52:53]
	ds_read_b128 v[44:47], v174 offset:8448
	ds_read_b128 v[64:67], v174 offset:9504
	;; [unrolled: 1-line block ×3, first 2 shown]
	s_mov_b32 s1, 0xbfed1bb4
	s_mov_b32 s5, 0x3fda9628
	;; [unrolled: 1-line block ×3, first 2 shown]
	v_add_f64 v[90:91], v[112:113], v[98:99]
	v_add_f64 v[96:97], v[114:115], v[88:89]
	s_waitcnt lgkmcnt(3)
	v_mul_f64 v[112:113], v[94:95], v[62:63]
	v_mul_f64 v[94:95], v[94:95], v[60:61]
	v_fma_f64 v[52:53], v[100:101], v[52:53], v[118:119]
	v_fma_f64 v[54:55], v[100:101], v[54:55], -v[102:103]
	s_waitcnt lgkmcnt(0)
	v_mul_f64 v[100:101], v[110:111], v[68:69]
	v_mul_f64 v[102:103], v[86:87], v[46:47]
	v_add_f64 v[90:91], v[90:91], v[48:49]
	v_add_f64 v[96:97], v[96:97], v[50:51]
	v_mul_f64 v[86:87], v[86:87], v[44:45]
	v_fma_f64 v[60:61], v[92:93], v[60:61], v[112:113]
	v_fma_f64 v[62:63], v[92:93], v[62:63], -v[94:95]
	v_mul_f64 v[94:95], v[110:111], v[70:71]
	v_fma_f64 v[70:71], v[108:109], v[70:71], -v[100:101]
	v_mul_f64 v[100:101], v[106:107], v[64:65]
	v_add_f64 v[90:91], v[90:91], v[52:53]
	v_add_f64 v[92:93], v[96:97], v[54:55]
	v_mul_f64 v[96:97], v[106:107], v[66:67]
	v_fma_f64 v[102:103], v[84:85], v[44:45], v[102:103]
	v_fma_f64 v[84:85], v[84:85], v[46:47], -v[86:87]
	v_fma_f64 v[68:69], v[108:109], v[68:69], v[94:95]
	v_add_f64 v[86:87], v[74:75], -v[70:71]
	v_fma_f64 v[66:67], v[104:105], v[66:67], -v[100:101]
	v_add_f64 v[44:45], v[90:91], v[60:61]
	v_add_f64 v[46:47], v[92:93], v[62:63]
	v_fma_f64 v[64:65], v[104:105], v[64:65], v[96:97]
	v_add_f64 v[74:75], v[74:75], v[70:71]
	s_mov_b32 s21, 0xbfc2375f
	v_add_f64 v[90:91], v[72:73], v[68:69]
	v_mul_f64 v[92:93], v[86:87], s[12:13]
	s_mov_b32 s25, 0xbfe82f19
	v_add_f64 v[44:45], v[44:45], v[102:103]
	v_add_f64 v[46:47], v[46:47], v[84:85]
	s_mov_b32 s27, 0xbfe4f49e
	s_mov_b32 s31, 0xbfd207e7
	;; [unrolled: 1-line block ×3, first 2 shown]
	v_add_f64 v[72:73], v[72:73], -v[68:69]
	v_mul_f64 v[94:95], v[74:75], s[6:7]
	v_fma_f64 v[96:97], v[90:91], s[6:7], v[92:93]
	v_add_f64 v[44:45], v[44:45], v[64:65]
	v_add_f64 v[46:47], v[46:47], v[66:67]
	v_mul_f64 v[100:101], v[86:87], s[0:1]
	v_mul_f64 v[104:105], v[74:75], s[4:5]
	;; [unrolled: 1-line block ×8, first 2 shown]
	v_add_f64 v[124:125], v[78:79], -v[66:67]
	v_add_f64 v[66:67], v[78:79], v[66:67]
	s_mov_b32 s19, 0x3fe14ced
	s_mov_b32 s18, s12
	;; [unrolled: 1-line block ×10, first 2 shown]
	v_fma_f64 v[106:107], v[72:73], s[18:19], v[94:95]
	v_add_f64 v[44:45], v[44:45], v[68:69]
	v_add_f64 v[46:47], v[46:47], v[70:71]
	v_fma_f64 v[68:69], v[90:91], s[6:7], -v[92:93]
	v_add_f64 v[70:71], v[56:57], v[96:97]
	v_fma_f64 v[92:93], v[72:73], s[12:13], v[94:95]
	v_fma_f64 v[96:97], v[72:73], s[14:15], v[104:105]
	;; [unrolled: 1-line block ×9, first 2 shown]
	v_add_f64 v[128:129], v[76:77], v[64:65]
	v_add_f64 v[64:65], v[76:77], -v[64:65]
	v_mul_f64 v[76:77], v[124:125], s[0:1]
	v_mul_f64 v[130:131], v[66:67], s[4:5]
	v_fma_f64 v[72:73], v[72:73], s[30:31], v[74:75]
	v_fma_f64 v[94:95], v[90:91], s[4:5], v[100:101]
	v_add_f64 v[106:107], v[58:59], v[106:107]
	v_add_f64 v[68:69], v[56:57], v[68:69]
	;; [unrolled: 1-line block ×4, first 2 shown]
	v_fma_f64 v[100:101], v[90:91], s[4:5], -v[100:101]
	v_fma_f64 v[110:111], v[90:91], s[20:21], v[108:109]
	v_fma_f64 v[108:109], v[90:91], s[20:21], -v[108:109]
	v_fma_f64 v[120:121], v[90:91], s[26:27], v[114:115]
	v_add_f64 v[104:105], v[58:59], v[104:105]
	v_add_f64 v[118:119], v[58:59], v[118:119]
	;; [unrolled: 1-line block ×4, first 2 shown]
	v_fma_f64 v[114:115], v[90:91], s[26:27], -v[114:115]
	v_add_f64 v[116:117], v[58:59], v[116:117]
	v_fma_f64 v[86:87], v[90:91], s[34:35], -v[86:87]
	v_add_f64 v[74:75], v[56:57], v[78:79]
	v_add_f64 v[78:79], v[58:59], v[126:127]
	v_mul_f64 v[90:91], v[124:125], s[24:25]
	v_mul_f64 v[126:127], v[66:67], s[26:27]
	v_fma_f64 v[132:133], v[128:129], s[4:5], v[76:77]
	v_fma_f64 v[134:135], v[64:65], s[14:15], v[130:131]
	v_add_f64 v[58:59], v[58:59], v[72:73]
	v_fma_f64 v[72:73], v[128:129], s[4:5], -v[76:77]
	v_fma_f64 v[76:77], v[64:65], s[0:1], v[130:131]
	v_add_f64 v[94:95], v[56:57], v[94:95]
	v_add_f64 v[100:101], v[56:57], v[100:101]
	;; [unrolled: 1-line block ×7, first 2 shown]
	v_fma_f64 v[86:87], v[128:129], s[26:27], v[90:91]
	v_fma_f64 v[130:131], v[64:65], s[28:29], v[126:127]
	v_add_f64 v[70:71], v[132:133], v[70:71]
	v_add_f64 v[106:107], v[134:135], v[106:107]
	v_mul_f64 v[132:133], v[124:125], s[36:37]
	v_mul_f64 v[134:135], v[66:67], s[34:35]
	v_add_f64 v[68:69], v[72:73], v[68:69]
	v_add_f64 v[72:73], v[76:77], v[92:93]
	v_fma_f64 v[90:91], v[128:129], s[26:27], -v[90:91]
	v_fma_f64 v[92:93], v[64:65], s[24:25], v[126:127]
	v_mul_f64 v[126:127], v[124:125], s[22:23]
	v_add_f64 v[76:77], v[86:87], v[94:95]
	v_add_f64 v[86:87], v[130:131], v[96:97]
	v_fma_f64 v[94:95], v[128:129], s[34:35], v[132:133]
	v_fma_f64 v[96:97], v[64:65], s[30:31], v[134:135]
	v_mul_f64 v[130:131], v[66:67], s[20:21]
	v_fma_f64 v[134:135], v[64:65], s[36:37], v[134:135]
	v_add_f64 v[90:91], v[90:91], v[100:101]
	v_fma_f64 v[100:101], v[128:129], s[20:21], v[126:127]
	v_mul_f64 v[124:125], v[124:125], s[18:19]
	v_mul_f64 v[66:67], v[66:67], s[6:7]
	v_add_f64 v[94:95], v[94:95], v[110:111]
	v_add_f64 v[96:97], v[96:97], v[118:119]
	v_fma_f64 v[118:119], v[64:65], s[22:23], v[130:131]
	v_add_f64 v[110:111], v[134:135], v[112:113]
	v_fma_f64 v[112:113], v[128:129], s[20:21], -v[126:127]
	v_add_f64 v[100:101], v[100:101], v[120:121]
	v_add_f64 v[120:121], v[82:83], -v[84:85]
	v_add_f64 v[92:93], v[92:93], v[104:105]
	v_fma_f64 v[104:105], v[64:65], s[16:17], v[130:131]
	v_add_f64 v[82:83], v[82:83], v[84:85]
	v_fma_f64 v[132:133], v[128:129], s[34:35], -v[132:133]
	v_add_f64 v[84:85], v[112:113], v[114:115]
	v_add_f64 v[112:113], v[118:119], v[116:117]
	v_fma_f64 v[114:115], v[128:129], s[6:7], v[124:125]
	v_fma_f64 v[116:117], v[64:65], s[12:13], v[66:67]
	v_add_f64 v[118:119], v[80:81], v[102:103]
	v_add_f64 v[80:81], v[80:81], -v[102:103]
	v_mul_f64 v[102:103], v[120:121], s[16:17]
	v_add_f64 v[104:105], v[104:105], v[122:123]
	v_mul_f64 v[122:123], v[82:83], s[20:21]
	v_fma_f64 v[64:65], v[64:65], s[18:19], v[66:67]
	v_add_f64 v[66:67], v[114:115], v[74:75]
	v_add_f64 v[74:75], v[116:117], v[78:79]
	v_mul_f64 v[78:79], v[120:121], s[36:37]
	v_fma_f64 v[124:125], v[128:129], s[6:7], -v[124:125]
	v_fma_f64 v[116:117], v[118:119], s[20:21], v[102:103]
	v_mul_f64 v[114:115], v[82:83], s[34:35]
	v_fma_f64 v[126:127], v[80:81], s[22:23], v[122:123]
	v_add_f64 v[58:59], v[64:65], v[58:59]
	v_fma_f64 v[64:65], v[118:119], s[20:21], -v[102:103]
	v_fma_f64 v[102:103], v[80:81], s[16:17], v[122:123]
	v_fma_f64 v[122:123], v[118:119], s[34:35], v[78:79]
	v_add_f64 v[56:57], v[124:125], v[56:57]
	v_add_f64 v[70:71], v[116:117], v[70:71]
	v_mul_f64 v[116:117], v[120:121], s[14:15]
	v_fma_f64 v[124:125], v[80:81], s[30:31], v[114:115]
	v_add_f64 v[106:107], v[126:127], v[106:107]
	v_mul_f64 v[126:127], v[82:83], s[4:5]
	v_add_f64 v[64:65], v[64:65], v[68:69]
	v_add_f64 v[68:69], v[102:103], v[72:73]
	v_add_f64 v[72:73], v[122:123], v[76:77]
	v_fma_f64 v[78:79], v[118:119], s[34:35], -v[78:79]
	v_fma_f64 v[102:103], v[118:119], s[4:5], v[116:117]
	v_mul_f64 v[122:123], v[120:121], s[12:13]
	v_add_f64 v[108:109], v[132:133], v[108:109]
	v_add_f64 v[76:77], v[124:125], v[86:87]
	v_fma_f64 v[86:87], v[80:81], s[36:37], v[114:115]
	v_fma_f64 v[114:115], v[80:81], s[0:1], v[126:127]
	v_fma_f64 v[116:117], v[118:119], s[4:5], -v[116:117]
	v_fma_f64 v[126:127], v[80:81], s[14:15], v[126:127]
	v_add_f64 v[78:79], v[78:79], v[90:91]
	v_add_f64 v[90:91], v[102:103], v[94:95]
	v_fma_f64 v[94:95], v[118:119], s[6:7], v[122:123]
	v_mul_f64 v[124:125], v[82:83], s[6:7]
	v_add_f64 v[86:87], v[86:87], v[92:93]
	v_add_f64 v[92:93], v[114:115], v[96:97]
	;; [unrolled: 1-line block ×4, first 2 shown]
	v_mul_f64 v[110:111], v[120:121], s[24:25]
	v_fma_f64 v[114:115], v[118:119], s[6:7], -v[122:123]
	v_add_f64 v[94:95], v[94:95], v[100:101]
	v_add_f64 v[100:101], v[88:89], -v[62:63]
	v_fma_f64 v[96:97], v[80:81], s[18:19], v[124:125]
	v_mul_f64 v[82:83], v[82:83], s[26:27]
	v_fma_f64 v[116:117], v[80:81], s[12:13], v[124:125]
	v_add_f64 v[62:63], v[88:89], v[62:63]
	v_fma_f64 v[88:89], v[118:119], s[26:27], v[110:111]
	v_add_f64 v[84:85], v[114:115], v[84:85]
	v_add_f64 v[114:115], v[98:99], v[60:61]
	v_add_f64 v[60:61], v[98:99], -v[60:61]
	v_mul_f64 v[98:99], v[100:101], s[24:25]
	v_add_f64 v[96:97], v[96:97], v[104:105]
	v_fma_f64 v[104:105], v[80:81], s[28:29], v[82:83]
	v_add_f64 v[112:113], v[116:117], v[112:113]
	v_mul_f64 v[116:117], v[62:63], s[26:27]
	v_add_f64 v[66:67], v[88:89], v[66:67]
	v_fma_f64 v[88:89], v[118:119], s[26:27], -v[110:111]
	v_fma_f64 v[80:81], v[80:81], s[24:25], v[82:83]
	v_fma_f64 v[110:111], v[114:115], s[26:27], v[98:99]
	v_fma_f64 v[98:99], v[114:115], s[26:27], -v[98:99]
	v_add_f64 v[74:75], v[104:105], v[74:75]
	v_mul_f64 v[82:83], v[100:101], s[22:23]
	v_mul_f64 v[104:105], v[62:63], s[20:21]
	v_fma_f64 v[118:119], v[60:61], s[28:29], v[116:117]
	v_fma_f64 v[116:117], v[60:61], s[24:25], v[116:117]
	v_add_f64 v[56:57], v[88:89], v[56:57]
	v_add_f64 v[70:71], v[110:111], v[70:71]
	;; [unrolled: 1-line block ×3, first 2 shown]
	v_mul_f64 v[98:99], v[100:101], s[12:13]
	v_mul_f64 v[110:111], v[62:63], s[6:7]
	v_add_f64 v[58:59], v[80:81], v[58:59]
	v_fma_f64 v[80:81], v[114:115], s[20:21], v[82:83]
	v_fma_f64 v[88:89], v[60:61], s[16:17], v[104:105]
	v_add_f64 v[106:107], v[118:119], v[106:107]
	v_add_f64 v[68:69], v[116:117], v[68:69]
	v_fma_f64 v[82:83], v[114:115], s[20:21], -v[82:83]
	v_fma_f64 v[104:105], v[60:61], s[22:23], v[104:105]
	v_fma_f64 v[116:117], v[114:115], s[6:7], v[98:99]
	;; [unrolled: 1-line block ×3, first 2 shown]
	v_fma_f64 v[98:99], v[114:115], s[6:7], -v[98:99]
	v_add_f64 v[72:73], v[80:81], v[72:73]
	v_add_f64 v[76:77], v[88:89], v[76:77]
	v_mul_f64 v[80:81], v[100:101], s[30:31]
	v_mul_f64 v[88:89], v[62:63], s[34:35]
	v_fma_f64 v[110:111], v[60:61], s[12:13], v[110:111]
	v_add_f64 v[78:79], v[82:83], v[78:79]
	v_add_f64 v[82:83], v[104:105], v[86:87]
	;; [unrolled: 1-line block ×5, first 2 shown]
	v_add_f64 v[102:103], v[50:51], -v[54:55]
	v_add_f64 v[104:105], v[50:51], v[54:55]
	v_mul_f64 v[50:51], v[100:101], s[14:15]
	v_mul_f64 v[54:55], v[62:63], s[4:5]
	v_fma_f64 v[120:121], v[114:115], s[34:35], v[80:81]
	v_fma_f64 v[122:123], v[60:61], s[36:37], v[88:89]
	v_add_f64 v[98:99], v[110:111], v[108:109]
	v_fma_f64 v[62:63], v[114:115], s[34:35], -v[80:81]
	v_fma_f64 v[80:81], v[60:61], s[30:31], v[88:89]
	v_add_f64 v[88:89], v[48:49], v[52:53]
	v_add_f64 v[100:101], v[48:49], -v[52:53]
	v_mul_f64 v[52:53], v[102:103], s[30:31]
	v_fma_f64 v[48:49], v[114:115], s[4:5], v[50:51]
	v_fma_f64 v[110:111], v[60:61], s[0:1], v[54:55]
	v_mul_f64 v[108:109], v[104:105], s[34:35]
	v_fma_f64 v[50:51], v[114:115], s[4:5], -v[50:51]
	v_add_f64 v[112:113], v[80:81], v[112:113]
	v_fma_f64 v[54:55], v[60:61], s[14:15], v[54:55]
	v_add_f64 v[84:85], v[62:63], v[84:85]
	v_fma_f64 v[60:61], v[88:89], s[34:35], v[52:53]
	v_add_f64 v[80:81], v[48:49], v[66:67]
	v_add_f64 v[110:111], v[110:111], v[74:75]
	v_mul_f64 v[66:67], v[102:103], s[18:19]
	v_mul_f64 v[74:75], v[104:105], s[6:7]
	v_fma_f64 v[62:63], v[100:101], s[36:37], v[108:109]
	v_add_f64 v[114:115], v[50:51], v[56:57]
	v_add_f64 v[116:117], v[54:55], v[58:59]
	;; [unrolled: 1-line block ×3, first 2 shown]
	v_fma_f64 v[52:53], v[88:89], s[34:35], -v[52:53]
	v_fma_f64 v[54:55], v[100:101], s[30:31], v[108:109]
	v_fma_f64 v[56:57], v[88:89], s[6:7], v[66:67]
	;; [unrolled: 1-line block ×3, first 2 shown]
	v_mul_f64 v[70:71], v[102:103], s[24:25]
	v_fma_f64 v[60:61], v[88:89], s[6:7], -v[66:67]
	v_mul_f64 v[66:67], v[104:105], s[26:27]
	v_add_f64 v[50:51], v[62:63], v[106:107]
	v_fma_f64 v[62:63], v[100:101], s[18:19], v[74:75]
	v_add_f64 v[52:53], v[52:53], v[64:65]
	v_add_f64 v[54:55], v[54:55], v[68:69]
	;; [unrolled: 1-line block ×4, first 2 shown]
	v_fma_f64 v[64:65], v[88:89], s[26:27], v[70:71]
	v_fma_f64 v[68:69], v[100:101], s[28:29], v[66:67]
	v_fma_f64 v[70:71], v[88:89], s[26:27], -v[70:71]
	v_fma_f64 v[72:73], v[100:101], s[24:25], v[66:67]
	v_mul_f64 v[74:75], v[102:103], s[14:15]
	v_mul_f64 v[76:77], v[104:105], s[4:5]
	v_add_f64 v[60:61], v[60:61], v[78:79]
	v_add_f64 v[62:63], v[62:63], v[82:83]
	v_mul_f64 v[78:79], v[102:103], s[16:17]
	v_mul_f64 v[82:83], v[104:105], s[20:21]
	v_add_f64 v[94:95], v[120:121], v[94:95]
	v_add_f64 v[96:97], v[122:123], v[96:97]
	;; [unrolled: 1-line block ×6, first 2 shown]
	v_fma_f64 v[72:73], v[88:89], s[4:5], v[74:75]
	v_fma_f64 v[86:87], v[100:101], s[0:1], v[76:77]
	v_fma_f64 v[92:93], v[88:89], s[20:21], v[78:79]
	v_fma_f64 v[98:99], v[100:101], s[22:23], v[82:83]
	v_fma_f64 v[90:91], v[88:89], s[4:5], -v[74:75]
	v_fma_f64 v[78:79], v[88:89], s[20:21], -v[78:79]
	v_fma_f64 v[88:89], v[100:101], s[16:17], v[82:83]
	v_fma_f64 v[100:101], v[100:101], s[14:15], v[76:77]
	v_add_f64 v[72:73], v[72:73], v[94:95]
	v_add_f64 v[74:75], v[86:87], v[96:97]
	;; [unrolled: 1-line block ×8, first 2 shown]
	ds_write_b128 v174, v[44:47]
	ds_write_b128 v174, v[48:51] offset:1056
	ds_write_b128 v174, v[56:59] offset:2112
	;; [unrolled: 1-line block ×10, first 2 shown]
	s_waitcnt lgkmcnt(0)
	s_barrier
	ds_read_b128 v[44:47], v174
	ds_read_b128 v[48:51], v174 offset:1056
	v_mad_u64_u32 v[52:53], s[0:1], s10, v172, 0
	s_waitcnt lgkmcnt(1)
	v_mul_f64 v[54:55], v[42:43], v[46:47]
	v_mul_f64 v[42:43], v[42:43], v[44:45]
	v_mad_u64_u32 v[56:57], s[0:1], s11, v172, v[53:54]
	v_mad_u64_u32 v[57:58], s[0:1], s8, v173, 0
	v_fma_f64 v[44:45], v[40:41], v[44:45], v[54:55]
	v_fma_f64 v[42:43], v[40:41], v[46:47], -v[42:43]
	v_mov_b32_e32 v40, v58
	v_mad_u64_u32 v[46:47], s[0:1], s9, v173, v[40:41]
	s_mov_b32 s0, 0x3a88d0c0
	s_mov_b32 s1, 0x3f569147
	v_mov_b32_e32 v58, v46
	s_waitcnt lgkmcnt(0)
	v_mul_f64 v[46:47], v[22:23], v[50:51]
	v_mul_f64 v[22:23], v[22:23], v[48:49]
	v_mov_b32_e32 v53, v56
	v_mul_f64 v[40:41], v[44:45], s[0:1]
	v_mul_f64 v[42:43], v[42:43], s[0:1]
	v_lshlrev_b64 v[44:45], 4, v[52:53]
	v_mov_b32_e32 v52, s3
	v_add_co_u32_e32 v53, vcc, s2, v44
	v_fma_f64 v[46:47], v[20:21], v[48:49], v[46:47]
	v_fma_f64 v[48:49], v[20:21], v[50:51], -v[22:23]
	ds_read_b128 v[20:23], v174 offset:2112
	v_addc_co_u32_e32 v52, vcc, v52, v45, vcc
	v_lshlrev_b64 v[44:45], 4, v[57:58]
	s_mul_i32 s2, s9, 0x420
	v_add_co_u32_e32 v50, vcc, v53, v44
	v_addc_co_u32_e32 v51, vcc, v52, v45, vcc
	global_store_dwordx4 v[50:51], v[40:43], off
	s_mul_hi_u32 s3, s8, 0x420
	v_mul_f64 v[40:41], v[46:47], s[0:1]
	ds_read_b128 v[44:47], v174 offset:3168
	s_waitcnt lgkmcnt(1)
	v_mul_f64 v[52:53], v[26:27], v[22:23]
	v_mul_f64 v[26:27], v[26:27], v[20:21]
	;; [unrolled: 1-line block ×3, first 2 shown]
	s_add_i32 s2, s3, s2
	s_waitcnt lgkmcnt(0)
	v_mul_f64 v[48:49], v[10:11], v[46:47]
	v_mul_f64 v[10:11], v[10:11], v[44:45]
	s_mul_i32 s3, s8, 0x420
	v_mov_b32_e32 v54, s2
	v_fma_f64 v[20:21], v[24:25], v[20:21], v[52:53]
	v_fma_f64 v[22:23], v[24:25], v[22:23], -v[26:27]
	ds_read_b128 v[24:27], v174 offset:4224
	v_add_co_u32_e32 v50, vcc, s3, v50
	v_addc_co_u32_e32 v51, vcc, v51, v54, vcc
	global_store_dwordx4 v[50:51], v[40:43], off
	v_mul_f64 v[20:21], v[20:21], s[0:1]
	v_mul_f64 v[22:23], v[22:23], s[0:1]
	v_fma_f64 v[40:41], v[8:9], v[44:45], v[48:49]
	v_fma_f64 v[42:43], v[8:9], v[46:47], -v[10:11]
	ds_read_b128 v[8:11], v174 offset:5280
	s_waitcnt lgkmcnt(1)
	v_mul_f64 v[44:45], v[38:39], v[26:27]
	v_mul_f64 v[38:39], v[38:39], v[24:25]
	v_mov_b32_e32 v52, s2
	v_add_co_u32_e32 v46, vcc, s3, v50
	v_addc_co_u32_e32 v47, vcc, v51, v52, vcc
	global_store_dwordx4 v[46:47], v[20:23], off
	v_fma_f64 v[24:25], v[36:37], v[24:25], v[44:45]
	v_mul_f64 v[20:21], v[40:41], s[0:1]
	v_mul_f64 v[22:23], v[42:43], s[0:1]
	v_fma_f64 v[26:27], v[36:37], v[26:27], -v[38:39]
	s_waitcnt lgkmcnt(0)
	v_mul_f64 v[36:37], v[14:15], v[10:11]
	v_mul_f64 v[14:15], v[14:15], v[8:9]
	v_mov_b32_e32 v40, s2
	v_add_co_u32_e32 v38, vcc, s3, v46
	v_addc_co_u32_e32 v39, vcc, v47, v40, vcc
	global_store_dwordx4 v[38:39], v[20:23], off
	v_fma_f64 v[36:37], v[12:13], v[8:9], v[36:37]
	v_mul_f64 v[20:21], v[24:25], s[0:1]
	v_mul_f64 v[22:23], v[26:27], s[0:1]
	ds_read_b128 v[24:27], v174 offset:6336
	v_fma_f64 v[14:15], v[12:13], v[10:11], -v[14:15]
	ds_read_b128 v[8:11], v174 offset:7392
	v_mov_b32_e32 v42, s2
	v_add_co_u32_e32 v38, vcc, s3, v38
	s_waitcnt lgkmcnt(1)
	v_mul_f64 v[40:41], v[30:31], v[26:27]
	v_mul_f64 v[30:31], v[30:31], v[24:25]
	v_addc_co_u32_e32 v39, vcc, v39, v42, vcc
	global_store_dwordx4 v[38:39], v[20:23], off
	v_mul_f64 v[12:13], v[36:37], s[0:1]
	v_mul_f64 v[14:15], v[14:15], s[0:1]
	v_mov_b32_e32 v36, s2
	v_fma_f64 v[20:21], v[28:29], v[24:25], v[40:41]
	v_fma_f64 v[22:23], v[28:29], v[26:27], -v[30:31]
	s_waitcnt lgkmcnt(0)
	v_mul_f64 v[24:25], v[6:7], v[10:11]
	v_mul_f64 v[6:7], v[6:7], v[8:9]
	v_add_co_u32_e32 v26, vcc, s3, v38
	v_addc_co_u32_e32 v27, vcc, v39, v36, vcc
	global_store_dwordx4 v[26:27], v[12:15], off
	v_mov_b32_e32 v30, s2
	v_mul_f64 v[12:13], v[20:21], s[0:1]
	v_mul_f64 v[14:15], v[22:23], s[0:1]
	ds_read_b128 v[20:23], v174 offset:8448
	v_fma_f64 v[8:9], v[4:5], v[8:9], v[24:25]
	v_fma_f64 v[10:11], v[4:5], v[10:11], -v[6:7]
	ds_read_b128 v[4:7], v174 offset:9504
	v_add_co_u32_e32 v26, vcc, s3, v26
	s_waitcnt lgkmcnt(1)
	v_mul_f64 v[24:25], v[34:35], v[22:23]
	v_mul_f64 v[28:29], v[34:35], v[20:21]
	v_addc_co_u32_e32 v27, vcc, v27, v30, vcc
	global_store_dwordx4 v[26:27], v[12:15], off
	ds_read_b128 v[12:15], v174 offset:10560
	v_mul_f64 v[8:9], v[8:9], s[0:1]
	v_mul_f64 v[10:11], v[10:11], s[0:1]
	v_fma_f64 v[20:21], v[32:33], v[20:21], v[24:25]
	v_add_co_u32_e32 v24, vcc, s3, v26
	v_addc_co_u32_e32 v25, vcc, v27, v30, vcc
	s_waitcnt lgkmcnt(1)
	v_mul_f64 v[26:27], v[2:3], v[6:7]
	v_mul_f64 v[2:3], v[2:3], v[4:5]
	v_fma_f64 v[22:23], v[32:33], v[22:23], -v[28:29]
	s_waitcnt lgkmcnt(0)
	v_mul_f64 v[28:29], v[18:19], v[14:15]
	v_mul_f64 v[18:19], v[18:19], v[12:13]
	global_store_dwordx4 v[24:25], v[8:11], off
	v_fma_f64 v[4:5], v[0:1], v[4:5], v[26:27]
	v_fma_f64 v[2:3], v[0:1], v[6:7], -v[2:3]
	v_mul_f64 v[8:9], v[20:21], s[0:1]
	v_fma_f64 v[6:7], v[16:17], v[12:13], v[28:29]
	v_fma_f64 v[12:13], v[16:17], v[14:15], -v[18:19]
	v_mul_f64 v[10:11], v[22:23], s[0:1]
	v_mov_b32_e32 v20, s2
	v_add_co_u32_e32 v14, vcc, s3, v24
	v_mul_f64 v[0:1], v[4:5], s[0:1]
	v_mul_f64 v[2:3], v[2:3], s[0:1]
	;; [unrolled: 1-line block ×4, first 2 shown]
	v_addc_co_u32_e32 v15, vcc, v25, v20, vcc
	global_store_dwordx4 v[14:15], v[8:11], off
	s_nop 0
	v_mov_b32_e32 v9, s2
	v_add_co_u32_e32 v8, vcc, s3, v14
	v_addc_co_u32_e32 v9, vcc, v15, v9, vcc
	global_store_dwordx4 v[8:9], v[0:3], off
	s_nop 0
	v_mov_b32_e32 v1, s2
	v_add_co_u32_e32 v0, vcc, s3, v8
	v_addc_co_u32_e32 v1, vcc, v9, v1, vcc
	global_store_dwordx4 v[0:1], v[4:7], off
.LBB0_10:
	s_endpgm
	.section	.rodata,"a",@progbits
	.p2align	6, 0x0
	.amdhsa_kernel bluestein_single_fwd_len726_dim1_dp_op_CI_CI
		.amdhsa_group_segment_fixed_size 23232
		.amdhsa_private_segment_fixed_size 0
		.amdhsa_kernarg_size 104
		.amdhsa_user_sgpr_count 6
		.amdhsa_user_sgpr_private_segment_buffer 1
		.amdhsa_user_sgpr_dispatch_ptr 0
		.amdhsa_user_sgpr_queue_ptr 0
		.amdhsa_user_sgpr_kernarg_segment_ptr 1
		.amdhsa_user_sgpr_dispatch_id 0
		.amdhsa_user_sgpr_flat_scratch_init 0
		.amdhsa_user_sgpr_private_segment_size 0
		.amdhsa_uses_dynamic_stack 0
		.amdhsa_system_sgpr_private_segment_wavefront_offset 0
		.amdhsa_system_sgpr_workgroup_id_x 1
		.amdhsa_system_sgpr_workgroup_id_y 0
		.amdhsa_system_sgpr_workgroup_id_z 0
		.amdhsa_system_sgpr_workgroup_info 0
		.amdhsa_system_vgpr_workitem_id 0
		.amdhsa_next_free_vgpr 243
		.amdhsa_next_free_sgpr 40
		.amdhsa_reserve_vcc 1
		.amdhsa_reserve_flat_scratch 0
		.amdhsa_float_round_mode_32 0
		.amdhsa_float_round_mode_16_64 0
		.amdhsa_float_denorm_mode_32 3
		.amdhsa_float_denorm_mode_16_64 3
		.amdhsa_dx10_clamp 1
		.amdhsa_ieee_mode 1
		.amdhsa_fp16_overflow 0
		.amdhsa_exception_fp_ieee_invalid_op 0
		.amdhsa_exception_fp_denorm_src 0
		.amdhsa_exception_fp_ieee_div_zero 0
		.amdhsa_exception_fp_ieee_overflow 0
		.amdhsa_exception_fp_ieee_underflow 0
		.amdhsa_exception_fp_ieee_inexact 0
		.amdhsa_exception_int_div_zero 0
	.end_amdhsa_kernel
	.text
.Lfunc_end0:
	.size	bluestein_single_fwd_len726_dim1_dp_op_CI_CI, .Lfunc_end0-bluestein_single_fwd_len726_dim1_dp_op_CI_CI
                                        ; -- End function
	.section	.AMDGPU.csdata,"",@progbits
; Kernel info:
; codeLenInByte = 17428
; NumSgprs: 44
; NumVgprs: 243
; ScratchSize: 0
; MemoryBound: 0
; FloatMode: 240
; IeeeMode: 1
; LDSByteSize: 23232 bytes/workgroup (compile time only)
; SGPRBlocks: 5
; VGPRBlocks: 60
; NumSGPRsForWavesPerEU: 44
; NumVGPRsForWavesPerEU: 243
; Occupancy: 1
; WaveLimiterHint : 1
; COMPUTE_PGM_RSRC2:SCRATCH_EN: 0
; COMPUTE_PGM_RSRC2:USER_SGPR: 6
; COMPUTE_PGM_RSRC2:TRAP_HANDLER: 0
; COMPUTE_PGM_RSRC2:TGID_X_EN: 1
; COMPUTE_PGM_RSRC2:TGID_Y_EN: 0
; COMPUTE_PGM_RSRC2:TGID_Z_EN: 0
; COMPUTE_PGM_RSRC2:TIDIG_COMP_CNT: 0
	.type	__hip_cuid_73360c97976b0c0,@object ; @__hip_cuid_73360c97976b0c0
	.section	.bss,"aw",@nobits
	.globl	__hip_cuid_73360c97976b0c0
__hip_cuid_73360c97976b0c0:
	.byte	0                               ; 0x0
	.size	__hip_cuid_73360c97976b0c0, 1

	.ident	"AMD clang version 19.0.0git (https://github.com/RadeonOpenCompute/llvm-project roc-6.4.0 25133 c7fe45cf4b819c5991fe208aaa96edf142730f1d)"
	.section	".note.GNU-stack","",@progbits
	.addrsig
	.addrsig_sym __hip_cuid_73360c97976b0c0
	.amdgpu_metadata
---
amdhsa.kernels:
  - .args:
      - .actual_access:  read_only
        .address_space:  global
        .offset:         0
        .size:           8
        .value_kind:     global_buffer
      - .actual_access:  read_only
        .address_space:  global
        .offset:         8
        .size:           8
        .value_kind:     global_buffer
      - .actual_access:  read_only
        .address_space:  global
        .offset:         16
        .size:           8
        .value_kind:     global_buffer
      - .actual_access:  read_only
        .address_space:  global
        .offset:         24
        .size:           8
        .value_kind:     global_buffer
      - .actual_access:  read_only
        .address_space:  global
        .offset:         32
        .size:           8
        .value_kind:     global_buffer
      - .offset:         40
        .size:           8
        .value_kind:     by_value
      - .address_space:  global
        .offset:         48
        .size:           8
        .value_kind:     global_buffer
      - .address_space:  global
        .offset:         56
        .size:           8
        .value_kind:     global_buffer
      - .address_space:  global
        .offset:         64
        .size:           8
        .value_kind:     global_buffer
      - .address_space:  global
        .offset:         72
        .size:           8
        .value_kind:     global_buffer
      - .offset:         80
        .size:           4
        .value_kind:     by_value
      - .address_space:  global
        .offset:         88
        .size:           8
        .value_kind:     global_buffer
      - .address_space:  global
        .offset:         96
        .size:           8
        .value_kind:     global_buffer
    .group_segment_fixed_size: 23232
    .kernarg_segment_align: 8
    .kernarg_segment_size: 104
    .language:       OpenCL C
    .language_version:
      - 2
      - 0
    .max_flat_workgroup_size: 132
    .name:           bluestein_single_fwd_len726_dim1_dp_op_CI_CI
    .private_segment_fixed_size: 0
    .sgpr_count:     44
    .sgpr_spill_count: 0
    .symbol:         bluestein_single_fwd_len726_dim1_dp_op_CI_CI.kd
    .uniform_work_group_size: 1
    .uses_dynamic_stack: false
    .vgpr_count:     243
    .vgpr_spill_count: 0
    .wavefront_size: 64
amdhsa.target:   amdgcn-amd-amdhsa--gfx906
amdhsa.version:
  - 1
  - 2
...

	.end_amdgpu_metadata
